;; amdgpu-corpus repo=zjin-lcf/HeCBench kind=compiled arch=gfx906 opt=O3
	.amdgcn_target "amdgcn-amd-amdhsa--gfx906"
	.amdhsa_code_object_version 6
	.section	.text._Z31static_scaled_int8_quant_kernelI6__halffEvPKT_PaT0_i,"axG",@progbits,_Z31static_scaled_int8_quant_kernelI6__halffEvPKT_PaT0_i,comdat
	.protected	_Z31static_scaled_int8_quant_kernelI6__halffEvPKT_PaT0_i ; -- Begin function _Z31static_scaled_int8_quant_kernelI6__halffEvPKT_PaT0_i
	.globl	_Z31static_scaled_int8_quant_kernelI6__halffEvPKT_PaT0_i
	.p2align	8
	.type	_Z31static_scaled_int8_quant_kernelI6__halffEvPKT_PaT0_i,@function
_Z31static_scaled_int8_quant_kernelI6__halffEvPKT_PaT0_i: ; @_Z31static_scaled_int8_quant_kernelI6__halffEvPKT_PaT0_i
; %bb.0:
	s_load_dwordx2 s[0:1], s[4:5], 0x10
	s_waitcnt lgkmcnt(0)
	v_cmp_gt_i32_e32 vcc, s1, v0
	s_and_saveexec_b64 s[2:3], vcc
	s_cbranch_execz .LBB0_3
; %bb.1:
	s_load_dwordx4 s[8:11], s[4:5], 0x0
	s_ashr_i32 s2, s1, 31
	s_mul_hi_u32 s3, s1, s6
	s_mul_i32 s2, s2, s6
	s_add_i32 s3, s3, s2
	s_mul_i32 s2, s1, s6
	s_load_dword s6, s[4:5], 0x24
	s_waitcnt lgkmcnt(0)
	s_add_u32 s4, s10, s2
	s_addc_u32 s10, s11, s3
	s_lshl_b64 s[2:3], s[2:3], 1
	s_add_u32 s5, s8, s2
	s_addc_u32 s7, s9, s3
	s_and_b32 s6, s6, 0xffff
	s_mov_b64 s[2:3], 0
	v_mov_b32_e32 v2, s7
	s_mov_b32 s7, 0x42fe0000
	v_mov_b32_e32 v3, 0x42fe0000
	s_mov_b32 s8, 0xc3000000
	v_mov_b32_e32 v4, 0xc3000000
	v_mov_b32_e32 v5, s10
.LBB0_2:                                ; =>This Inner Loop Header: Depth=1
	v_ashrrev_i32_e32 v1, 31, v0
	v_lshlrev_b64 v[6:7], 1, v[0:1]
	v_add_co_u32_e32 v6, vcc, s5, v6
	v_addc_co_u32_e32 v7, vcc, v2, v7, vcc
	global_load_ushort v6, v[6:7], off
	s_waitcnt vmcnt(0)
	v_cvt_f32_f16_e32 v6, v6
	v_div_scale_f32 v7, s[10:11], s0, s0, v6
	v_div_scale_f32 v8, vcc, v6, s0, v6
	v_rcp_f32_e32 v9, v7
	v_fma_f32 v10, -v7, v9, 1.0
	v_fmac_f32_e32 v9, v10, v9
	v_mul_f32_e32 v10, v8, v9
	v_fma_f32 v11, -v7, v10, v8
	v_fmac_f32_e32 v10, v11, v9
	v_fma_f32 v7, -v7, v10, v8
	v_div_fmas_f32 v7, v7, v9, v10
	v_div_fixup_f32 v6, v7, s0, v6
	v_rndne_f32_e32 v6, v6
	v_cmp_nlt_f32_e32 vcc, s7, v6
	v_cndmask_b32_e32 v7, v3, v6, vcc
	v_cmp_ngt_f32_e32 vcc, s8, v6
	v_cndmask_b32_e32 v6, v4, v7, vcc
	v_cvt_i32_f32_e32 v8, v6
	v_add_co_u32_e32 v6, vcc, s4, v0
	v_addc_co_u32_e32 v7, vcc, v5, v1, vcc
	v_add_u32_e32 v0, s6, v0
	v_cmp_le_i32_e32 vcc, s1, v0
	s_or_b64 s[2:3], vcc, s[2:3]
	global_store_byte v[6:7], v8, off
	s_andn2_b64 exec, exec, s[2:3]
	s_cbranch_execnz .LBB0_2
.LBB0_3:
	s_endpgm
	.section	.rodata,"a",@progbits
	.p2align	6, 0x0
	.amdhsa_kernel _Z31static_scaled_int8_quant_kernelI6__halffEvPKT_PaT0_i
		.amdhsa_group_segment_fixed_size 0
		.amdhsa_private_segment_fixed_size 0
		.amdhsa_kernarg_size 280
		.amdhsa_user_sgpr_count 6
		.amdhsa_user_sgpr_private_segment_buffer 1
		.amdhsa_user_sgpr_dispatch_ptr 0
		.amdhsa_user_sgpr_queue_ptr 0
		.amdhsa_user_sgpr_kernarg_segment_ptr 1
		.amdhsa_user_sgpr_dispatch_id 0
		.amdhsa_user_sgpr_flat_scratch_init 0
		.amdhsa_user_sgpr_private_segment_size 0
		.amdhsa_uses_dynamic_stack 0
		.amdhsa_system_sgpr_private_segment_wavefront_offset 0
		.amdhsa_system_sgpr_workgroup_id_x 1
		.amdhsa_system_sgpr_workgroup_id_y 0
		.amdhsa_system_sgpr_workgroup_id_z 0
		.amdhsa_system_sgpr_workgroup_info 0
		.amdhsa_system_vgpr_workitem_id 0
		.amdhsa_next_free_vgpr 12
		.amdhsa_next_free_sgpr 12
		.amdhsa_reserve_vcc 1
		.amdhsa_reserve_flat_scratch 0
		.amdhsa_float_round_mode_32 0
		.amdhsa_float_round_mode_16_64 0
		.amdhsa_float_denorm_mode_32 3
		.amdhsa_float_denorm_mode_16_64 3
		.amdhsa_dx10_clamp 1
		.amdhsa_ieee_mode 1
		.amdhsa_fp16_overflow 0
		.amdhsa_exception_fp_ieee_invalid_op 0
		.amdhsa_exception_fp_denorm_src 0
		.amdhsa_exception_fp_ieee_div_zero 0
		.amdhsa_exception_fp_ieee_overflow 0
		.amdhsa_exception_fp_ieee_underflow 0
		.amdhsa_exception_fp_ieee_inexact 0
		.amdhsa_exception_int_div_zero 0
	.end_amdhsa_kernel
	.section	.text._Z31static_scaled_int8_quant_kernelI6__halffEvPKT_PaT0_i,"axG",@progbits,_Z31static_scaled_int8_quant_kernelI6__halffEvPKT_PaT0_i,comdat
.Lfunc_end0:
	.size	_Z31static_scaled_int8_quant_kernelI6__halffEvPKT_PaT0_i, .Lfunc_end0-_Z31static_scaled_int8_quant_kernelI6__halffEvPKT_PaT0_i
                                        ; -- End function
	.set _Z31static_scaled_int8_quant_kernelI6__halffEvPKT_PaT0_i.num_vgpr, 12
	.set _Z31static_scaled_int8_quant_kernelI6__halffEvPKT_PaT0_i.num_agpr, 0
	.set _Z31static_scaled_int8_quant_kernelI6__halffEvPKT_PaT0_i.numbered_sgpr, 12
	.set _Z31static_scaled_int8_quant_kernelI6__halffEvPKT_PaT0_i.num_named_barrier, 0
	.set _Z31static_scaled_int8_quant_kernelI6__halffEvPKT_PaT0_i.private_seg_size, 0
	.set _Z31static_scaled_int8_quant_kernelI6__halffEvPKT_PaT0_i.uses_vcc, 1
	.set _Z31static_scaled_int8_quant_kernelI6__halffEvPKT_PaT0_i.uses_flat_scratch, 0
	.set _Z31static_scaled_int8_quant_kernelI6__halffEvPKT_PaT0_i.has_dyn_sized_stack, 0
	.set _Z31static_scaled_int8_quant_kernelI6__halffEvPKT_PaT0_i.has_recursion, 0
	.set _Z31static_scaled_int8_quant_kernelI6__halffEvPKT_PaT0_i.has_indirect_call, 0
	.section	.AMDGPU.csdata,"",@progbits
; Kernel info:
; codeLenInByte = 308
; TotalNumSgprs: 16
; NumVgprs: 12
; ScratchSize: 0
; MemoryBound: 0
; FloatMode: 240
; IeeeMode: 1
; LDSByteSize: 0 bytes/workgroup (compile time only)
; SGPRBlocks: 1
; VGPRBlocks: 2
; NumSGPRsForWavesPerEU: 16
; NumVGPRsForWavesPerEU: 12
; Occupancy: 10
; WaveLimiterHint : 0
; COMPUTE_PGM_RSRC2:SCRATCH_EN: 0
; COMPUTE_PGM_RSRC2:USER_SGPR: 6
; COMPUTE_PGM_RSRC2:TRAP_HANDLER: 0
; COMPUTE_PGM_RSRC2:TGID_X_EN: 1
; COMPUTE_PGM_RSRC2:TGID_Y_EN: 0
; COMPUTE_PGM_RSRC2:TGID_Z_EN: 0
; COMPUTE_PGM_RSRC2:TIDIG_COMP_CNT: 0
	.section	.text._Z35static_scaled_int8_azp_quant_kernelI6__halffiEvPKT_PaT0_T1_i,"axG",@progbits,_Z35static_scaled_int8_azp_quant_kernelI6__halffiEvPKT_PaT0_T1_i,comdat
	.protected	_Z35static_scaled_int8_azp_quant_kernelI6__halffiEvPKT_PaT0_T1_i ; -- Begin function _Z35static_scaled_int8_azp_quant_kernelI6__halffiEvPKT_PaT0_T1_i
	.globl	_Z35static_scaled_int8_azp_quant_kernelI6__halffiEvPKT_PaT0_T1_i
	.p2align	8
	.type	_Z35static_scaled_int8_azp_quant_kernelI6__halffiEvPKT_PaT0_T1_i,@function
_Z35static_scaled_int8_azp_quant_kernelI6__halffiEvPKT_PaT0_T1_i: ; @_Z35static_scaled_int8_azp_quant_kernelI6__halffiEvPKT_PaT0_T1_i
; %bb.0:
	s_load_dwordx4 s[0:3], s[4:5], 0x10
	s_waitcnt lgkmcnt(0)
	v_cmp_gt_i32_e32 vcc, s2, v0
	s_and_saveexec_b64 s[8:9], vcc
	s_cbranch_execz .LBB1_7
; %bb.1:
	s_load_dwordx4 s[8:11], s[4:5], 0x0
	s_load_dword s12, s[4:5], 0x2c
	s_ashr_i32 s3, s2, 31
	s_mul_hi_u32 s7, s2, s6
	s_mul_i32 s3, s3, s6
	s_add_i32 s7, s7, s3
	s_mul_i32 s6, s2, s6
	s_waitcnt lgkmcnt(0)
	s_add_u32 s3, s10, s6
	s_addc_u32 s15, s11, s7
	s_lshl_b64 s[4:5], s[6:7], 1
	s_add_u32 s10, s8, s4
	s_addc_u32 s6, s9, s5
	s_and_b32 s11, s12, 0xffff
	s_mov_b64 s[4:5], 0
	v_mov_b32_e32 v2, s6
	s_mov_b32 s12, 0x4f000000
	s_mov_b32 s13, 0xcf000000
	s_movk_i32 s14, 0xff80
	v_mov_b32_e32 v3, 0x7f
	v_mov_b32_e32 v4, s15
	s_branch .LBB1_4
.LBB1_2:                                ;   in Loop: Header=BB1_4 Depth=1
	s_or_b64 exec, exec, s[8:9]
.LBB1_3:                                ;   in Loop: Header=BB1_4 Depth=1
	s_or_b64 exec, exec, s[6:7]
	v_add_u32_e32 v5, s1, v5
	v_med3_i32 v7, v5, s14, v3
	v_add_co_u32_e32 v5, vcc, s3, v0
	v_addc_co_u32_e32 v6, vcc, v4, v1, vcc
	v_add_u32_e32 v0, s11, v0
	v_cmp_le_i32_e32 vcc, s2, v0
	s_or_b64 s[4:5], vcc, s[4:5]
	global_store_byte v[5:6], v7, off
	s_andn2_b64 exec, exec, s[4:5]
	s_cbranch_execz .LBB1_7
.LBB1_4:                                ; =>This Inner Loop Header: Depth=1
	v_ashrrev_i32_e32 v1, 31, v0
	v_lshlrev_b64 v[5:6], 1, v[0:1]
	v_add_co_u32_e32 v5, vcc, s10, v5
	v_addc_co_u32_e32 v6, vcc, v2, v6, vcc
	global_load_ushort v5, v[5:6], off
	s_waitcnt vmcnt(0)
	v_cvt_f32_f16_e32 v5, v5
	v_div_scale_f32 v6, s[6:7], s0, s0, v5
	v_div_scale_f32 v7, vcc, v5, s0, v5
	v_rcp_f32_e32 v8, v6
	v_fma_f32 v9, -v6, v8, 1.0
	v_fmac_f32_e32 v8, v9, v8
	v_mul_f32_e32 v9, v7, v8
	v_fma_f32 v10, -v6, v9, v7
	v_fmac_f32_e32 v9, v10, v8
	v_fma_f32 v6, -v6, v9, v7
	v_div_fmas_f32 v6, v6, v8, v9
	v_div_fixup_f32 v5, v6, s0, v5
	v_rndne_f32_e32 v6, v5
	v_cmp_nle_f32_e32 vcc, s12, v6
	v_bfrev_b32_e32 v5, -2
	s_and_saveexec_b64 s[6:7], vcc
	s_cbranch_execz .LBB1_3
; %bb.5:                                ;   in Loop: Header=BB1_4 Depth=1
	v_cmp_nge_f32_e32 vcc, s13, v6
	v_bfrev_b32_e32 v5, 1
	s_and_saveexec_b64 s[8:9], vcc
	s_cbranch_execz .LBB1_2
; %bb.6:                                ;   in Loop: Header=BB1_4 Depth=1
	v_cvt_i32_f32_e32 v5, v6
	s_branch .LBB1_2
.LBB1_7:
	s_endpgm
	.section	.rodata,"a",@progbits
	.p2align	6, 0x0
	.amdhsa_kernel _Z35static_scaled_int8_azp_quant_kernelI6__halffiEvPKT_PaT0_T1_i
		.amdhsa_group_segment_fixed_size 0
		.amdhsa_private_segment_fixed_size 0
		.amdhsa_kernarg_size 288
		.amdhsa_user_sgpr_count 6
		.amdhsa_user_sgpr_private_segment_buffer 1
		.amdhsa_user_sgpr_dispatch_ptr 0
		.amdhsa_user_sgpr_queue_ptr 0
		.amdhsa_user_sgpr_kernarg_segment_ptr 1
		.amdhsa_user_sgpr_dispatch_id 0
		.amdhsa_user_sgpr_flat_scratch_init 0
		.amdhsa_user_sgpr_private_segment_size 0
		.amdhsa_uses_dynamic_stack 0
		.amdhsa_system_sgpr_private_segment_wavefront_offset 0
		.amdhsa_system_sgpr_workgroup_id_x 1
		.amdhsa_system_sgpr_workgroup_id_y 0
		.amdhsa_system_sgpr_workgroup_id_z 0
		.amdhsa_system_sgpr_workgroup_info 0
		.amdhsa_system_vgpr_workitem_id 0
		.amdhsa_next_free_vgpr 11
		.amdhsa_next_free_sgpr 16
		.amdhsa_reserve_vcc 1
		.amdhsa_reserve_flat_scratch 0
		.amdhsa_float_round_mode_32 0
		.amdhsa_float_round_mode_16_64 0
		.amdhsa_float_denorm_mode_32 3
		.amdhsa_float_denorm_mode_16_64 3
		.amdhsa_dx10_clamp 1
		.amdhsa_ieee_mode 1
		.amdhsa_fp16_overflow 0
		.amdhsa_exception_fp_ieee_invalid_op 0
		.amdhsa_exception_fp_denorm_src 0
		.amdhsa_exception_fp_ieee_div_zero 0
		.amdhsa_exception_fp_ieee_overflow 0
		.amdhsa_exception_fp_ieee_underflow 0
		.amdhsa_exception_fp_ieee_inexact 0
		.amdhsa_exception_int_div_zero 0
	.end_amdhsa_kernel
	.section	.text._Z35static_scaled_int8_azp_quant_kernelI6__halffiEvPKT_PaT0_T1_i,"axG",@progbits,_Z35static_scaled_int8_azp_quant_kernelI6__halffiEvPKT_PaT0_T1_i,comdat
.Lfunc_end1:
	.size	_Z35static_scaled_int8_azp_quant_kernelI6__halffiEvPKT_PaT0_T1_i, .Lfunc_end1-_Z35static_scaled_int8_azp_quant_kernelI6__halffiEvPKT_PaT0_T1_i
                                        ; -- End function
	.set _Z35static_scaled_int8_azp_quant_kernelI6__halffiEvPKT_PaT0_T1_i.num_vgpr, 11
	.set _Z35static_scaled_int8_azp_quant_kernelI6__halffiEvPKT_PaT0_T1_i.num_agpr, 0
	.set _Z35static_scaled_int8_azp_quant_kernelI6__halffiEvPKT_PaT0_T1_i.numbered_sgpr, 16
	.set _Z35static_scaled_int8_azp_quant_kernelI6__halffiEvPKT_PaT0_T1_i.num_named_barrier, 0
	.set _Z35static_scaled_int8_azp_quant_kernelI6__halffiEvPKT_PaT0_T1_i.private_seg_size, 0
	.set _Z35static_scaled_int8_azp_quant_kernelI6__halffiEvPKT_PaT0_T1_i.uses_vcc, 1
	.set _Z35static_scaled_int8_azp_quant_kernelI6__halffiEvPKT_PaT0_T1_i.uses_flat_scratch, 0
	.set _Z35static_scaled_int8_azp_quant_kernelI6__halffiEvPKT_PaT0_T1_i.has_dyn_sized_stack, 0
	.set _Z35static_scaled_int8_azp_quant_kernelI6__halffiEvPKT_PaT0_T1_i.has_recursion, 0
	.set _Z35static_scaled_int8_azp_quant_kernelI6__halffiEvPKT_PaT0_T1_i.has_indirect_call, 0
	.section	.AMDGPU.csdata,"",@progbits
; Kernel info:
; codeLenInByte = 348
; TotalNumSgprs: 20
; NumVgprs: 11
; ScratchSize: 0
; MemoryBound: 0
; FloatMode: 240
; IeeeMode: 1
; LDSByteSize: 0 bytes/workgroup (compile time only)
; SGPRBlocks: 2
; VGPRBlocks: 2
; NumSGPRsForWavesPerEU: 20
; NumVGPRsForWavesPerEU: 11
; Occupancy: 10
; WaveLimiterHint : 0
; COMPUTE_PGM_RSRC2:SCRATCH_EN: 0
; COMPUTE_PGM_RSRC2:USER_SGPR: 6
; COMPUTE_PGM_RSRC2:TRAP_HANDLER: 0
; COMPUTE_PGM_RSRC2:TGID_X_EN: 1
; COMPUTE_PGM_RSRC2:TGID_Y_EN: 0
; COMPUTE_PGM_RSRC2:TGID_Z_EN: 0
; COMPUTE_PGM_RSRC2:TIDIG_COMP_CNT: 0
	.section	.text._Z32dynamic_scaled_int8_quant_kernelI6__halffEvPKT_PaPT0_i,"axG",@progbits,_Z32dynamic_scaled_int8_quant_kernelI6__halffEvPKT_PaPT0_i,comdat
	.protected	_Z32dynamic_scaled_int8_quant_kernelI6__halffEvPKT_PaPT0_i ; -- Begin function _Z32dynamic_scaled_int8_quant_kernelI6__halffEvPKT_PaPT0_i
	.globl	_Z32dynamic_scaled_int8_quant_kernelI6__halffEvPKT_PaPT0_i
	.p2align	8
	.type	_Z32dynamic_scaled_int8_quant_kernelI6__halffEvPKT_PaPT0_i,@function
_Z32dynamic_scaled_int8_quant_kernelI6__halffEvPKT_PaPT0_i: ; @_Z32dynamic_scaled_int8_quant_kernelI6__halffEvPKT_PaPT0_i
; %bb.0:
	s_load_dword s16, s[4:5], 0x18
	s_load_dwordx2 s[0:1], s[4:5], 0x0
                                        ; implicit-def: $sgpr14
	s_waitcnt lgkmcnt(0)
	s_ashr_i32 s2, s16, 31
	s_mul_hi_u32 s3, s16, s6
	s_mul_i32 s2, s2, s6
	s_add_i32 s11, s3, s2
	s_mul_i32 s10, s16, s6
	s_lshl_b64 s[2:3], s[10:11], 1
	s_add_u32 s17, s0, s2
	s_addc_u32 s18, s1, s3
	s_add_u32 s8, s4, 32
	v_cmp_gt_i32_e64 s[0:1], s16, v0
	v_cmp_le_i32_e32 vcc, s16, v0
	s_addc_u32 s9, s5, 0
	s_and_saveexec_b64 s[2:3], vcc
	s_xor_b64 s[2:3], exec, s[2:3]
	s_cbranch_execz .LBB2_2
; %bb.1:
	s_load_dword s7, s[8:9], 0xc
	s_waitcnt lgkmcnt(0)
	s_and_b32 s14, s7, 0xffff
.LBB2_2:
	s_or_saveexec_b64 s[2:3], s[2:3]
	s_load_dwordx2 s[12:13], s[4:5], 0x8
	s_mov_b32 s7, 0
	v_mov_b32_e32 v3, 0
	v_mov_b32_e32 v2, s14
	s_xor_b64 exec, exec, s[2:3]
	s_cbranch_execz .LBB2_6
; %bb.3:
	s_load_dword s14, s[8:9], 0xc
	v_mov_b32_e32 v3, 0
	s_mov_b64 s[8:9], 0
	v_mov_b32_e32 v4, s18
	v_mov_b32_e32 v1, v0
	s_waitcnt lgkmcnt(0)
	s_and_b32 s14, s14, 0xffff
.LBB2_4:                                ; =>This Inner Loop Header: Depth=1
	v_ashrrev_i32_e32 v2, 31, v1
	v_lshlrev_b64 v[5:6], 1, v[1:2]
	v_add_u32_e32 v1, s14, v1
	v_add_co_u32_e32 v5, vcc, s17, v5
	v_addc_co_u32_e32 v6, vcc, v4, v6, vcc
	global_load_ushort v2, v[5:6], off
	v_cmp_le_i32_e32 vcc, s16, v1
	s_or_b64 s[8:9], vcc, s[8:9]
	s_waitcnt vmcnt(0)
	v_cvt_f32_f16_e32 v5, v2
	v_cmp_lt_f16_e32 vcc, 0, v2
	v_cndmask_b32_e64 v2, -v5, v5, vcc
	v_cmp_gt_f32_e32 vcc, v2, v3
	v_cndmask_b32_e32 v3, v3, v2, vcc
	s_andn2_b64 exec, exec, s[8:9]
	s_cbranch_execnz .LBB2_4
; %bb.5:
	s_or_b64 exec, exec, s[8:9]
	v_mov_b32_e32 v2, s14
.LBB2_6:
	s_or_b64 exec, exec, s[2:3]
	v_mbcnt_lo_u32_b32 v1, -1, 0
	v_mbcnt_hi_u32_b32 v1, -1, v1
	v_and_b32_e32 v5, 63, v1
	v_cmp_ne_u32_e32 vcc, 63, v5
	v_addc_co_u32_e32 v4, vcc, 0, v1, vcc
	v_lshlrev_b32_e32 v4, 2, v4
	ds_bpermute_b32 v4, v4, v3
	v_and_b32_e32 v6, 0x3c0, v0
	v_sub_u32_e64 v6, v2, v6 clamp
	v_add_u32_e32 v7, 1, v5
	v_cmp_gt_u32_e64 s[2:3], 62, v5
	s_waitcnt lgkmcnt(0)
	v_cmp_lt_f32_e32 vcc, v3, v4
	v_cndmask_b32_e32 v4, v3, v4, vcc
	v_cmp_lt_u32_e32 vcc, v7, v6
	v_cndmask_b32_e64 v7, 0, 2, s[2:3]
	v_cndmask_b32_e32 v4, v3, v4, vcc
	v_add_lshl_u32 v7, v7, v1, 2
	ds_bpermute_b32 v7, v7, v4
	v_add_u32_e32 v8, 2, v5
	s_waitcnt lgkmcnt(0)
	v_cmp_lt_f32_e64 s[2:3], v4, v7
	v_cndmask_b32_e64 v7, v4, v7, s[2:3]
	v_cmp_lt_u32_e64 s[2:3], v8, v6
	v_cndmask_b32_e64 v4, v4, v7, s[2:3]
	v_cmp_gt_u32_e64 s[2:3], 60, v5
	v_cndmask_b32_e64 v7, 0, 4, s[2:3]
	v_add_lshl_u32 v7, v7, v1, 2
	ds_bpermute_b32 v7, v7, v4
	v_add_u32_e32 v8, 4, v5
	s_waitcnt lgkmcnt(0)
	v_cmp_lt_f32_e64 s[2:3], v4, v7
	v_cndmask_b32_e64 v7, v4, v7, s[2:3]
	v_cmp_lt_u32_e64 s[2:3], v8, v6
	v_cndmask_b32_e64 v4, v4, v7, s[2:3]
	v_cmp_gt_u32_e64 s[2:3], 56, v5
	v_cndmask_b32_e64 v7, 0, 8, s[2:3]
	;; [unrolled: 10-line block ×3, first 2 shown]
	v_add_lshl_u32 v7, v7, v1, 2
	ds_bpermute_b32 v7, v7, v4
	v_add_u32_e32 v8, 16, v5
	v_add_u32_e32 v5, 32, v5
	s_waitcnt lgkmcnt(0)
	v_cmp_lt_f32_e64 s[2:3], v4, v7
	v_cndmask_b32_e64 v7, v4, v7, s[2:3]
	v_cmp_lt_u32_e64 s[2:3], v8, v6
	v_cndmask_b32_e64 v7, v4, v7, s[2:3]
	v_lshlrev_b32_e32 v4, 2, v1
	v_or_b32_e32 v8, 0x80, v4
	ds_bpermute_b32 v8, v8, v7
	v_cmp_lt_u32_e64 s[2:3], v5, v6
	s_waitcnt lgkmcnt(0)
	v_cmp_lt_f32_e64 s[8:9], v7, v8
	s_and_b64 s[2:3], s[2:3], s[8:9]
	v_cndmask_b32_e64 v5, v7, v8, s[2:3]
	v_cndmask_b32_e32 v3, v3, v5, vcc
	v_cmp_eq_u32_e32 vcc, 0, v1
	s_and_saveexec_b64 s[2:3], vcc
; %bb.7:
	v_lshrrev_b32_e32 v5, 4, v0
	v_and_b32_e32 v5, 60, v5
	ds_write_b32 v5, v3
; %bb.8:
	s_or_b64 exec, exec, s[2:3]
	v_cmp_gt_u32_e32 vcc, 16, v0
	s_waitcnt lgkmcnt(0)
	s_barrier
	s_and_saveexec_b64 s[14:15], vcc
	s_cbranch_execz .LBB2_10
; %bb.9:
	ds_read_b32 v3, v4
	v_and_b32_e32 v5, 15, v1
	v_cmp_ne_u32_e32 vcc, 15, v5
	v_addc_co_u32_e32 v6, vcc, 0, v1, vcc
	v_lshlrev_b32_e32 v6, 2, v6
	s_waitcnt lgkmcnt(0)
	ds_bpermute_b32 v6, v6, v3
	v_add_u32_e32 v7, 63, v2
	v_lshrrev_b32_e32 v7, 6, v7
	v_add_u32_e32 v8, 1, v5
	v_cmp_gt_u32_e64 s[2:3], 14, v5
	s_waitcnt lgkmcnt(0)
	v_cmp_lt_f32_e32 vcc, v3, v6
	v_cndmask_b32_e32 v6, v3, v6, vcc
	v_cmp_lt_u32_e32 vcc, v8, v7
	v_cndmask_b32_e64 v8, 0, 2, s[2:3]
	v_cndmask_b32_e32 v6, v3, v6, vcc
	v_add_lshl_u32 v8, v8, v1, 2
	ds_bpermute_b32 v8, v8, v6
	v_add_u32_e32 v9, 2, v5
	v_or_b32_e32 v4, 32, v4
	s_waitcnt lgkmcnt(0)
	v_cmp_lt_f32_e64 s[2:3], v6, v8
	v_cndmask_b32_e64 v8, v6, v8, s[2:3]
	v_cmp_lt_u32_e64 s[2:3], v9, v7
	v_cndmask_b32_e64 v6, v6, v8, s[2:3]
	v_cmp_gt_u32_e64 s[2:3], 12, v5
	v_cndmask_b32_e64 v8, 0, 4, s[2:3]
	v_add_lshl_u32 v1, v8, v1, 2
	ds_bpermute_b32 v1, v1, v6
	v_add_u32_e32 v8, 4, v5
	v_add_u32_e32 v5, 8, v5
	s_waitcnt lgkmcnt(0)
	v_cmp_lt_f32_e64 s[2:3], v6, v1
	v_cndmask_b32_e64 v1, v6, v1, s[2:3]
	v_cmp_lt_u32_e64 s[2:3], v8, v7
	v_cndmask_b32_e64 v1, v6, v1, s[2:3]
	ds_bpermute_b32 v4, v4, v1
	v_cmp_lt_u32_e64 s[2:3], v5, v7
	s_waitcnt lgkmcnt(0)
	v_cmp_lt_f32_e64 s[8:9], v1, v4
	s_and_b64 s[2:3], s[2:3], s[8:9]
	v_cndmask_b32_e64 v1, v1, v4, s[2:3]
	v_cndmask_b32_e32 v3, v3, v1, vcc
.LBB2_10:
	s_or_b64 exec, exec, s[14:15]
	v_cmp_eq_u32_e32 vcc, 0, v0
	s_and_saveexec_b64 s[2:3], vcc
	s_cbranch_execz .LBB2_12
; %bb.11:
	s_mov_b32 s14, 0x42fe0000
	v_div_scale_f32 v1, s[8:9], s14, s14, v3
	v_div_scale_f32 v4, vcc, v3, s14, v3
	s_load_dwordx2 s[4:5], s[4:5], 0x10
	s_lshl_b64 s[6:7], s[6:7], 2
	s_waitcnt lgkmcnt(0)
	s_add_u32 s4, s4, s6
	s_addc_u32 s5, s5, s7
	v_rcp_f32_e32 v5, v1
	v_fma_f32 v6, -v1, v5, 1.0
	v_fmac_f32_e32 v5, v6, v5
	v_mul_f32_e32 v6, v4, v5
	v_fma_f32 v7, -v1, v6, v4
	v_fmac_f32_e32 v6, v7, v5
	v_fma_f32 v1, -v1, v6, v4
	v_div_fmas_f32 v1, v1, v5, v6
	v_mov_b32_e32 v4, 0
	ds_write_b32 v4, v3 offset:64
	v_div_fixup_f32 v1, v1, s14, v3
	global_store_dword v4, v1, s[4:5]
.LBB2_12:
	s_or_b64 exec, exec, s[2:3]
	s_waitcnt vmcnt(0) lgkmcnt(0)
	s_barrier
	s_and_saveexec_b64 s[2:3], s[0:1]
	s_cbranch_execz .LBB2_15
; %bb.13:
	v_mov_b32_e32 v1, 0
	ds_read_b32 v1, v1 offset:64
	s_mov_b32 s2, 0x42fe0000
	s_add_u32 s3, s12, s10
	s_addc_u32 s5, s13, s11
	s_mov_b32 s4, 0xc3000000
	s_waitcnt lgkmcnt(0)
	v_div_scale_f32 v3, s[0:1], v1, v1, s2
	v_div_scale_f32 v4, vcc, s2, v1, s2
	s_mov_b64 s[0:1], 0
	v_rcp_f32_e32 v5, v3
	v_fma_f32 v6, -v3, v5, 1.0
	v_fmac_f32_e32 v5, v6, v5
	v_mul_f32_e32 v6, v4, v5
	v_fma_f32 v7, -v3, v6, v4
	v_fmac_f32_e32 v6, v7, v5
	v_fma_f32 v3, -v3, v6, v4
	v_div_fmas_f32 v6, v3, v5, v6
	v_mov_b32_e32 v3, s18
	v_mov_b32_e32 v4, 0x42fe0000
	;; [unrolled: 1-line block ×4, first 2 shown]
	v_div_fixup_f32 v6, v6, v1, s2
.LBB2_14:                               ; =>This Inner Loop Header: Depth=1
	v_ashrrev_i32_e32 v1, 31, v0
	v_lshlrev_b64 v[8:9], 1, v[0:1]
	v_add_co_u32_e32 v8, vcc, s17, v8
	v_addc_co_u32_e32 v9, vcc, v3, v9, vcc
	global_load_ushort v8, v[8:9], off
	s_waitcnt vmcnt(0)
	v_cvt_f32_f16_e32 v8, v8
	v_mul_f32_e32 v8, v6, v8
	v_rndne_f32_e32 v8, v8
	v_cmp_nlt_f32_e32 vcc, s2, v8
	v_cndmask_b32_e32 v9, v4, v8, vcc
	v_cmp_ngt_f32_e32 vcc, s4, v8
	v_cndmask_b32_e32 v8, v5, v9, vcc
	v_cvt_i32_f32_e32 v10, v8
	v_add_co_u32_e32 v8, vcc, s3, v0
	v_addc_co_u32_e32 v9, vcc, v7, v1, vcc
	v_add_u32_e32 v0, v0, v2
	v_cmp_le_i32_e32 vcc, s16, v0
	s_or_b64 s[0:1], vcc, s[0:1]
	global_store_byte v[8:9], v10, off
	s_andn2_b64 exec, exec, s[0:1]
	s_cbranch_execnz .LBB2_14
.LBB2_15:
	s_endpgm
	.section	.rodata,"a",@progbits
	.p2align	6, 0x0
	.amdhsa_kernel _Z32dynamic_scaled_int8_quant_kernelI6__halffEvPKT_PaPT0_i
		.amdhsa_group_segment_fixed_size 68
		.amdhsa_private_segment_fixed_size 0
		.amdhsa_kernarg_size 288
		.amdhsa_user_sgpr_count 6
		.amdhsa_user_sgpr_private_segment_buffer 1
		.amdhsa_user_sgpr_dispatch_ptr 0
		.amdhsa_user_sgpr_queue_ptr 0
		.amdhsa_user_sgpr_kernarg_segment_ptr 1
		.amdhsa_user_sgpr_dispatch_id 0
		.amdhsa_user_sgpr_flat_scratch_init 0
		.amdhsa_user_sgpr_private_segment_size 0
		.amdhsa_uses_dynamic_stack 0
		.amdhsa_system_sgpr_private_segment_wavefront_offset 0
		.amdhsa_system_sgpr_workgroup_id_x 1
		.amdhsa_system_sgpr_workgroup_id_y 0
		.amdhsa_system_sgpr_workgroup_id_z 0
		.amdhsa_system_sgpr_workgroup_info 0
		.amdhsa_system_vgpr_workitem_id 0
		.amdhsa_next_free_vgpr 11
		.amdhsa_next_free_sgpr 19
		.amdhsa_reserve_vcc 1
		.amdhsa_reserve_flat_scratch 0
		.amdhsa_float_round_mode_32 0
		.amdhsa_float_round_mode_16_64 0
		.amdhsa_float_denorm_mode_32 3
		.amdhsa_float_denorm_mode_16_64 3
		.amdhsa_dx10_clamp 1
		.amdhsa_ieee_mode 1
		.amdhsa_fp16_overflow 0
		.amdhsa_exception_fp_ieee_invalid_op 0
		.amdhsa_exception_fp_denorm_src 0
		.amdhsa_exception_fp_ieee_div_zero 0
		.amdhsa_exception_fp_ieee_overflow 0
		.amdhsa_exception_fp_ieee_underflow 0
		.amdhsa_exception_fp_ieee_inexact 0
		.amdhsa_exception_int_div_zero 0
	.end_amdhsa_kernel
	.section	.text._Z32dynamic_scaled_int8_quant_kernelI6__halffEvPKT_PaPT0_i,"axG",@progbits,_Z32dynamic_scaled_int8_quant_kernelI6__halffEvPKT_PaPT0_i,comdat
.Lfunc_end2:
	.size	_Z32dynamic_scaled_int8_quant_kernelI6__halffEvPKT_PaPT0_i, .Lfunc_end2-_Z32dynamic_scaled_int8_quant_kernelI6__halffEvPKT_PaPT0_i
                                        ; -- End function
	.set _Z32dynamic_scaled_int8_quant_kernelI6__halffEvPKT_PaPT0_i.num_vgpr, 11
	.set _Z32dynamic_scaled_int8_quant_kernelI6__halffEvPKT_PaPT0_i.num_agpr, 0
	.set _Z32dynamic_scaled_int8_quant_kernelI6__halffEvPKT_PaPT0_i.numbered_sgpr, 19
	.set _Z32dynamic_scaled_int8_quant_kernelI6__halffEvPKT_PaPT0_i.num_named_barrier, 0
	.set _Z32dynamic_scaled_int8_quant_kernelI6__halffEvPKT_PaPT0_i.private_seg_size, 0
	.set _Z32dynamic_scaled_int8_quant_kernelI6__halffEvPKT_PaPT0_i.uses_vcc, 1
	.set _Z32dynamic_scaled_int8_quant_kernelI6__halffEvPKT_PaPT0_i.uses_flat_scratch, 0
	.set _Z32dynamic_scaled_int8_quant_kernelI6__halffEvPKT_PaPT0_i.has_dyn_sized_stack, 0
	.set _Z32dynamic_scaled_int8_quant_kernelI6__halffEvPKT_PaPT0_i.has_recursion, 0
	.set _Z32dynamic_scaled_int8_quant_kernelI6__halffEvPKT_PaPT0_i.has_indirect_call, 0
	.section	.AMDGPU.csdata,"",@progbits
; Kernel info:
; codeLenInByte = 1404
; TotalNumSgprs: 23
; NumVgprs: 11
; ScratchSize: 0
; MemoryBound: 0
; FloatMode: 240
; IeeeMode: 1
; LDSByteSize: 68 bytes/workgroup (compile time only)
; SGPRBlocks: 2
; VGPRBlocks: 2
; NumSGPRsForWavesPerEU: 23
; NumVGPRsForWavesPerEU: 11
; Occupancy: 10
; WaveLimiterHint : 0
; COMPUTE_PGM_RSRC2:SCRATCH_EN: 0
; COMPUTE_PGM_RSRC2:USER_SGPR: 6
; COMPUTE_PGM_RSRC2:TRAP_HANDLER: 0
; COMPUTE_PGM_RSRC2:TGID_X_EN: 1
; COMPUTE_PGM_RSRC2:TGID_Y_EN: 0
; COMPUTE_PGM_RSRC2:TGID_Z_EN: 0
; COMPUTE_PGM_RSRC2:TIDIG_COMP_CNT: 0
	.section	.text._Z36dynamic_scaled_int8_azp_quant_kernelI6__halffiEvPKT_PaPT0_PT1_i,"axG",@progbits,_Z36dynamic_scaled_int8_azp_quant_kernelI6__halffiEvPKT_PaPT0_PT1_i,comdat
	.protected	_Z36dynamic_scaled_int8_azp_quant_kernelI6__halffiEvPKT_PaPT0_PT1_i ; -- Begin function _Z36dynamic_scaled_int8_azp_quant_kernelI6__halffiEvPKT_PaPT0_PT1_i
	.globl	_Z36dynamic_scaled_int8_azp_quant_kernelI6__halffiEvPKT_PaPT0_PT1_i
	.p2align	8
	.type	_Z36dynamic_scaled_int8_azp_quant_kernelI6__halffiEvPKT_PaPT0_PT1_i,@function
_Z36dynamic_scaled_int8_azp_quant_kernelI6__halffiEvPKT_PaPT0_PT1_i: ; @_Z36dynamic_scaled_int8_azp_quant_kernelI6__halffiEvPKT_PaPT0_PT1_i
; %bb.0:
	s_load_dword s33, s[4:5], 0x20
	s_load_dwordx2 s[0:1], s[4:5], 0x0
                                        ; implicit-def: $sgpr10
	s_waitcnt lgkmcnt(0)
	s_ashr_i32 s2, s33, 31
	s_mul_hi_u32 s3, s33, s6
	s_mul_i32 s2, s2, s6
	s_add_i32 s27, s3, s2
	s_mul_i32 s26, s33, s6
	s_lshl_b64 s[2:3], s[26:27], 1
	s_add_u32 s34, s0, s2
	s_addc_u32 s35, s1, s3
	s_add_u32 s8, s4, 40
	v_cmp_gt_i32_e64 s[0:1], s33, v0
	v_cmp_le_i32_e32 vcc, s33, v0
	s_addc_u32 s9, s5, 0
	s_and_saveexec_b64 s[2:3], vcc
	s_xor_b64 s[2:3], exec, s[2:3]
	s_cbranch_execz .LBB3_2
; %bb.1:
	s_load_dword s7, s[8:9], 0xc
	s_waitcnt lgkmcnt(0)
	s_and_b32 s10, s7, 0xffff
.LBB3_2:
	s_or_saveexec_b64 s[2:3], s[2:3]
	s_load_dwordx2 s[28:29], s[4:5], 0x8
	s_mov_b32 s7, 0
	v_mov_b32_e32 v3, 0x7f7fffff
	v_mov_b32_e32 v5, 0x800000
	;; [unrolled: 1-line block ×3, first 2 shown]
	s_xor_b64 exec, exec, s[2:3]
	s_cbranch_execz .LBB3_6
; %bb.3:
	s_load_dword s10, s[8:9], 0xc
	v_mov_b32_e32 v3, 0x7f7fffff
	v_mov_b32_e32 v5, 0x800000
	s_mov_b64 s[8:9], 0
	v_mov_b32_e32 v4, s35
	s_waitcnt lgkmcnt(0)
	s_and_b32 s10, s10, 0xffff
	v_mov_b32_e32 v1, v0
.LBB3_4:                                ; =>This Inner Loop Header: Depth=1
	v_ashrrev_i32_e32 v2, 31, v1
	v_lshlrev_b64 v[6:7], 1, v[1:2]
	v_add_u32_e32 v1, s10, v1
	v_add_co_u32_e32 v6, vcc, s34, v6
	v_addc_co_u32_e32 v7, vcc, v4, v7, vcc
	global_load_ushort v2, v[6:7], off
	v_cmp_le_i32_e32 vcc, s33, v1
	s_or_b64 s[8:9], vcc, s[8:9]
	s_waitcnt vmcnt(0)
	v_cvt_f32_f16_e32 v2, v2
	v_cmp_lt_f32_e32 vcc, v5, v2
	v_cndmask_b32_e32 v5, v5, v2, vcc
	v_cmp_gt_f32_e32 vcc, v3, v2
	v_cndmask_b32_e32 v3, v3, v2, vcc
	s_andn2_b64 exec, exec, s[8:9]
	s_cbranch_execnz .LBB3_4
; %bb.5:
	s_or_b64 exec, exec, s[8:9]
	v_mov_b32_e32 v4, s10
.LBB3_6:
	s_or_b64 exec, exec, s[2:3]
	v_mbcnt_lo_u32_b32 v1, -1, 0
	v_mbcnt_hi_u32_b32 v1, -1, v1
	v_and_b32_e32 v2, 63, v1
	v_cmp_ne_u32_e32 vcc, 63, v2
	v_addc_co_u32_e32 v6, vcc, 0, v1, vcc
	v_lshlrev_b32_e32 v6, 2, v6
	ds_bpermute_b32 v7, v6, v5
	v_and_b32_e32 v8, 0x3c0, v0
	v_sub_u32_e64 v12, v4, v8 clamp
	v_add_u32_e32 v8, 1, v2
	v_cmp_gt_u32_e64 s[2:3], 62, v2
	s_waitcnt lgkmcnt(0)
	v_cmp_lt_f32_e32 vcc, v5, v7
	v_cndmask_b32_e32 v7, v5, v7, vcc
	v_cmp_lt_u32_e32 vcc, v8, v12
	v_cndmask_b32_e64 v8, 0, 2, s[2:3]
	v_cndmask_b32_e32 v7, v5, v7, vcc
	v_add_lshl_u32 v9, v8, v1, 2
	ds_bpermute_b32 v8, v9, v7
	v_add_u32_e32 v10, 2, v2
	v_cmp_gt_u32_e64 s[8:9], 60, v2
	v_add_u32_e32 v11, 4, v2
	v_cmp_gt_u32_e64 s[10:11], 56, v2
	s_waitcnt lgkmcnt(0)
	v_cmp_lt_f32_e64 s[2:3], v7, v8
	v_cndmask_b32_e64 v8, v7, v8, s[2:3]
	v_cmp_lt_u32_e64 s[2:3], v10, v12
	v_cndmask_b32_e64 v7, v7, v8, s[2:3]
	v_cndmask_b32_e64 v8, 0, 4, s[8:9]
	v_add_lshl_u32 v10, v8, v1, 2
	ds_bpermute_b32 v8, v10, v7
	v_add_u32_e32 v13, 8, v2
	v_cmp_gt_u32_e64 s[12:13], 48, v2
	v_add_u32_e32 v14, 16, v2
	v_add_u32_e32 v2, 32, v2
	s_waitcnt lgkmcnt(0)
	v_cmp_lt_f32_e64 s[8:9], v7, v8
	v_cndmask_b32_e64 v8, v7, v8, s[8:9]
	v_cmp_lt_u32_e64 s[8:9], v11, v12
	v_cndmask_b32_e64 v7, v7, v8, s[8:9]
	v_cndmask_b32_e64 v8, 0, 8, s[10:11]
	v_add_lshl_u32 v11, v8, v1, 2
	ds_bpermute_b32 v8, v11, v7
	v_cmp_lt_u32_e64 s[14:15], v2, v12
	s_waitcnt lgkmcnt(0)
	v_cmp_lt_f32_e64 s[10:11], v7, v8
	v_cndmask_b32_e64 v8, v7, v8, s[10:11]
	v_cmp_lt_u32_e64 s[10:11], v13, v12
	v_cndmask_b32_e64 v7, v7, v8, s[10:11]
	v_cndmask_b32_e64 v8, 0, 16, s[12:13]
	v_add_lshl_u32 v13, v8, v1, 2
	ds_bpermute_b32 v8, v13, v7
	s_waitcnt lgkmcnt(0)
	v_cmp_lt_f32_e64 s[12:13], v7, v8
	v_cndmask_b32_e64 v8, v7, v8, s[12:13]
	v_cmp_lt_u32_e64 s[12:13], v14, v12
	v_cndmask_b32_e64 v7, v7, v8, s[12:13]
	v_lshlrev_b32_e32 v8, 2, v1
	v_or_b32_e32 v15, 0x80, v8
	ds_bpermute_b32 v14, v15, v7
	s_waitcnt lgkmcnt(0)
	v_cmp_lt_f32_e64 s[16:17], v7, v14
	s_and_b64 s[16:17], s[14:15], s[16:17]
	v_cndmask_b32_e64 v2, v7, v14, s[16:17]
	v_cndmask_b32_e32 v7, v5, v2, vcc
	v_cmp_eq_u32_e64 s[16:17], 0, v1
	v_lshrrev_b32_e32 v14, 4, v0
	s_and_saveexec_b64 s[18:19], s[16:17]
; %bb.7:
	v_and_b32_e32 v2, 60, v14
	ds_write_b32 v2, v7
; %bb.8:
	s_or_b64 exec, exec, s[18:19]
	v_cmp_gt_u32_e64 s[18:19], 16, v0
	v_add_u32_e32 v12, 63, v4
	v_and_b32_e32 v2, 15, v1
	v_or_b32_e32 v5, 32, v8
	s_waitcnt lgkmcnt(0)
	s_barrier
	s_and_saveexec_b64 s[30:31], s[18:19]
	s_cbranch_execz .LBB3_10
; %bb.9:
	ds_read_b32 v7, v8
	v_cmp_ne_u32_e64 s[20:21], 15, v2
	v_addc_co_u32_e64 v16, s[20:21], 0, v1, s[20:21]
	v_lshlrev_b32_e32 v16, 2, v16
	s_waitcnt lgkmcnt(0)
	ds_bpermute_b32 v16, v16, v7
	v_lshrrev_b32_e32 v17, 6, v12
	v_add_u32_e32 v18, 1, v2
	v_cmp_gt_u32_e64 s[22:23], 14, v2
	v_add_u32_e32 v19, 2, v2
	s_waitcnt lgkmcnt(0)
	v_cmp_lt_f32_e64 s[20:21], v7, v16
	v_cndmask_b32_e64 v16, v7, v16, s[20:21]
	v_cmp_lt_u32_e64 s[20:21], v18, v17
	v_cndmask_b32_e64 v18, 0, 2, s[22:23]
	v_cndmask_b32_e64 v16, v7, v16, s[20:21]
	v_add_lshl_u32 v18, v18, v1, 2
	ds_bpermute_b32 v18, v18, v16
	s_waitcnt lgkmcnt(0)
	v_cmp_lt_f32_e64 s[22:23], v16, v18
	v_cndmask_b32_e64 v18, v16, v18, s[22:23]
	v_cmp_lt_u32_e64 s[22:23], v19, v17
	v_cndmask_b32_e64 v16, v16, v18, s[22:23]
	v_cmp_gt_u32_e64 s[22:23], 12, v2
	v_cndmask_b32_e64 v18, 0, 4, s[22:23]
	v_add_lshl_u32 v18, v18, v1, 2
	ds_bpermute_b32 v18, v18, v16
	v_add_u32_e32 v19, 4, v2
	s_waitcnt lgkmcnt(0)
	v_cmp_lt_f32_e64 s[22:23], v16, v18
	v_cndmask_b32_e64 v18, v16, v18, s[22:23]
	v_cmp_lt_u32_e64 s[22:23], v19, v17
	v_cndmask_b32_e64 v16, v16, v18, s[22:23]
	ds_bpermute_b32 v18, v5, v16
	v_add_u32_e32 v19, 8, v2
	v_cmp_lt_u32_e64 s[22:23], v19, v17
	s_waitcnt lgkmcnt(0)
	v_cmp_lt_f32_e64 s[24:25], v16, v18
	s_and_b64 s[22:23], s[22:23], s[24:25]
	v_cndmask_b32_e64 v16, v16, v18, s[22:23]
	v_cndmask_b32_e64 v7, v7, v16, s[20:21]
.LBB3_10:
	s_or_b64 exec, exec, s[30:31]
	ds_bpermute_b32 v6, v6, v3
	s_waitcnt lgkmcnt(0)
	s_barrier
	v_cmp_gt_f32_e64 s[20:21], v3, v6
	v_cndmask_b32_e64 v6, v3, v6, s[20:21]
	v_cndmask_b32_e32 v6, v3, v6, vcc
	ds_bpermute_b32 v9, v9, v6
	s_waitcnt lgkmcnt(0)
	v_cmp_gt_f32_e64 s[20:21], v6, v9
	v_cndmask_b32_e64 v9, v6, v9, s[20:21]
	v_cndmask_b32_e64 v6, v6, v9, s[2:3]
	ds_bpermute_b32 v9, v10, v6
	s_waitcnt lgkmcnt(0)
	v_cmp_gt_f32_e64 s[2:3], v6, v9
	v_cndmask_b32_e64 v9, v6, v9, s[2:3]
	v_cndmask_b32_e64 v6, v6, v9, s[8:9]
	;; [unrolled: 5-line block ×4, first 2 shown]
	ds_bpermute_b32 v9, v15, v6
	s_waitcnt lgkmcnt(0)
	v_cmp_gt_f32_e64 s[2:3], v6, v9
	s_and_b64 s[2:3], s[14:15], s[2:3]
	v_cndmask_b32_e64 v6, v6, v9, s[2:3]
	v_cndmask_b32_e32 v3, v3, v6, vcc
	s_and_saveexec_b64 s[2:3], s[16:17]
; %bb.11:
	v_and_b32_e32 v6, 60, v14
	ds_write_b32 v6, v3
; %bb.12:
	s_or_b64 exec, exec, s[2:3]
	s_waitcnt lgkmcnt(0)
	s_barrier
	s_and_saveexec_b64 s[10:11], s[18:19]
	s_cbranch_execz .LBB3_14
; %bb.13:
	ds_read_b32 v3, v8
	v_cmp_ne_u32_e32 vcc, 15, v2
	v_addc_co_u32_e32 v6, vcc, 0, v1, vcc
	v_lshlrev_b32_e32 v6, 2, v6
	s_waitcnt lgkmcnt(0)
	ds_bpermute_b32 v6, v6, v3
	v_lshrrev_b32_e32 v8, 6, v12
	v_add_u32_e32 v9, 1, v2
	v_cmp_gt_u32_e64 s[2:3], 14, v2
	v_add_u32_e32 v10, 2, v2
	s_waitcnt lgkmcnt(0)
	v_cmp_gt_f32_e32 vcc, v3, v6
	v_cndmask_b32_e32 v6, v3, v6, vcc
	v_cmp_lt_u32_e32 vcc, v9, v8
	v_cndmask_b32_e64 v9, 0, 2, s[2:3]
	v_cndmask_b32_e32 v6, v3, v6, vcc
	v_add_lshl_u32 v9, v9, v1, 2
	ds_bpermute_b32 v9, v9, v6
	s_waitcnt lgkmcnt(0)
	v_cmp_gt_f32_e64 s[2:3], v6, v9
	v_cndmask_b32_e64 v9, v6, v9, s[2:3]
	v_cmp_lt_u32_e64 s[2:3], v10, v8
	v_cndmask_b32_e64 v6, v6, v9, s[2:3]
	v_cmp_gt_u32_e64 s[2:3], 12, v2
	v_cndmask_b32_e64 v9, 0, 4, s[2:3]
	v_add_lshl_u32 v1, v9, v1, 2
	ds_bpermute_b32 v1, v1, v6
	v_add_u32_e32 v9, 4, v2
	v_add_u32_e32 v2, 8, v2
	s_waitcnt lgkmcnt(0)
	v_cmp_gt_f32_e64 s[2:3], v6, v1
	v_cndmask_b32_e64 v1, v6, v1, s[2:3]
	v_cmp_lt_u32_e64 s[2:3], v9, v8
	v_cndmask_b32_e64 v1, v6, v1, s[2:3]
	ds_bpermute_b32 v5, v5, v1
	v_cmp_lt_u32_e64 s[2:3], v2, v8
	s_waitcnt lgkmcnt(0)
	v_cmp_gt_f32_e64 s[8:9], v1, v5
	s_and_b64 s[2:3], s[2:3], s[8:9]
	v_cndmask_b32_e64 v1, v1, v5, s[2:3]
	v_cndmask_b32_e32 v3, v3, v1, vcc
.LBB3_14:
	s_or_b64 exec, exec, s[10:11]
	v_cmp_eq_u32_e32 vcc, 0, v0
	s_and_saveexec_b64 s[2:3], vcc
	s_cbranch_execz .LBB3_16
; %bb.15:
	v_sub_f32_e32 v1, v7, v3
	s_mov_b32 s10, 0x437f0000
	v_div_scale_f32 v2, s[8:9], s10, s10, v1
	v_div_scale_f32 v5, vcc, v1, s10, v1
	v_rcp_f32_e32 v6, v2
	v_fma_f32 v7, -v2, v6, 1.0
	v_fmac_f32_e32 v6, v7, v6
	v_mul_f32_e32 v7, v5, v6
	v_fma_f32 v8, -v2, v7, v5
	v_fmac_f32_e32 v7, v8, v6
	v_fma_f32 v2, -v2, v7, v5
	v_div_fmas_f32 v2, v2, v6, v7
	v_div_fixup_f32 v2, v2, s10, v1
	v_div_scale_f32 v1, s[8:9], v2, v2, v3
	v_div_scale_f32 v5, vcc, v3, v2, v3
	s_load_dwordx4 s[8:11], s[4:5], 0x10
	s_lshl_b64 s[4:5], s[6:7], 2
	s_waitcnt lgkmcnt(0)
	s_add_u32 s6, s8, s4
	s_addc_u32 s7, s9, s5
	s_add_u32 s4, s10, s4
	s_addc_u32 s5, s11, s5
	v_rcp_f32_e32 v6, v1
	v_fma_f32 v7, -v1, v6, 1.0
	v_fmac_f32_e32 v6, v7, v6
	v_mul_f32_e32 v7, v5, v6
	v_fma_f32 v8, -v1, v7, v5
	v_fmac_f32_e32 v7, v8, v6
	v_fma_f32 v1, -v1, v7, v5
	v_div_fmas_f32 v1, v1, v6, v7
	v_mov_b32_e32 v5, 0
	global_store_dword v5, v2, s[6:7]
	v_div_fixup_f32 v1, v1, v2, v3
	v_sub_f32_e32 v1, 0xc3000000, v1
	v_rndne_f32_e32 v1, v1
	v_cvt_i32_f32_e32 v1, v1
	ds_write_b64 v5, v[1:2] offset:64
	global_store_dword v5, v1, s[4:5]
.LBB3_16:
	s_or_b64 exec, exec, s[2:3]
	s_waitcnt vmcnt(0) lgkmcnt(0)
	s_barrier
	s_and_saveexec_b64 s[2:3], s[0:1]
	s_cbranch_execz .LBB3_23
; %bb.17:
	v_mov_b32_e32 v1, 0
	ds_read_b64 v[2:3], v1 offset:64
	s_add_u32 s6, s28, s26
	s_addc_u32 s2, s29, s27
	s_mov_b64 s[0:1], 0
	v_mov_b32_e32 v5, s35
	s_mov_b32 s7, 0x4f000000
	s_mov_b32 s8, 0xcf000000
	s_movk_i32 s9, 0xff80
	v_mov_b32_e32 v6, 0x7f
	v_mov_b32_e32 v7, s2
	s_branch .LBB3_20
.LBB3_18:                               ;   in Loop: Header=BB3_20 Depth=1
	s_or_b64 exec, exec, s[4:5]
.LBB3_19:                               ;   in Loop: Header=BB3_20 Depth=1
	s_or_b64 exec, exec, s[2:3]
	v_add_u32_e32 v8, v8, v2
	v_med3_i32 v10, v8, s9, v6
	v_add_co_u32_e32 v8, vcc, s6, v0
	v_addc_co_u32_e32 v9, vcc, v7, v1, vcc
	v_add_u32_e32 v0, v0, v4
	v_cmp_le_i32_e32 vcc, s33, v0
	s_or_b64 s[0:1], vcc, s[0:1]
	global_store_byte v[8:9], v10, off
	s_andn2_b64 exec, exec, s[0:1]
	s_cbranch_execz .LBB3_23
.LBB3_20:                               ; =>This Inner Loop Header: Depth=1
	v_ashrrev_i32_e32 v1, 31, v0
	v_lshlrev_b64 v[8:9], 1, v[0:1]
	v_add_co_u32_e32 v8, vcc, s34, v8
	v_addc_co_u32_e32 v9, vcc, v5, v9, vcc
	global_load_ushort v8, v[8:9], off
	s_waitcnt vmcnt(0)
	v_cvt_f32_f16_e32 v8, v8
	s_waitcnt lgkmcnt(0)
	v_div_scale_f32 v9, s[2:3], v3, v3, v8
	v_div_scale_f32 v10, vcc, v8, v3, v8
	v_rcp_f32_e32 v11, v9
	v_fma_f32 v12, -v9, v11, 1.0
	v_fmac_f32_e32 v11, v12, v11
	v_mul_f32_e32 v12, v10, v11
	v_fma_f32 v13, -v9, v12, v10
	v_fmac_f32_e32 v12, v13, v11
	v_fma_f32 v9, -v9, v12, v10
	v_div_fmas_f32 v9, v9, v11, v12
	v_div_fixup_f32 v8, v9, v3, v8
	v_rndne_f32_e32 v9, v8
	v_cmp_nle_f32_e32 vcc, s7, v9
	v_bfrev_b32_e32 v8, -2
	s_and_saveexec_b64 s[2:3], vcc
	s_cbranch_execz .LBB3_19
; %bb.21:                               ;   in Loop: Header=BB3_20 Depth=1
	v_cmp_nge_f32_e32 vcc, s8, v9
	v_bfrev_b32_e32 v8, 1
	s_and_saveexec_b64 s[4:5], vcc
	s_cbranch_execz .LBB3_18
; %bb.22:                               ;   in Loop: Header=BB3_20 Depth=1
	v_cvt_i32_f32_e32 v8, v9
	s_branch .LBB3_18
.LBB3_23:
	s_endpgm
	.section	.rodata,"a",@progbits
	.p2align	6, 0x0
	.amdhsa_kernel _Z36dynamic_scaled_int8_azp_quant_kernelI6__halffiEvPKT_PaPT0_PT1_i
		.amdhsa_group_segment_fixed_size 72
		.amdhsa_private_segment_fixed_size 0
		.amdhsa_kernarg_size 296
		.amdhsa_user_sgpr_count 6
		.amdhsa_user_sgpr_private_segment_buffer 1
		.amdhsa_user_sgpr_dispatch_ptr 0
		.amdhsa_user_sgpr_queue_ptr 0
		.amdhsa_user_sgpr_kernarg_segment_ptr 1
		.amdhsa_user_sgpr_dispatch_id 0
		.amdhsa_user_sgpr_flat_scratch_init 0
		.amdhsa_user_sgpr_private_segment_size 0
		.amdhsa_uses_dynamic_stack 0
		.amdhsa_system_sgpr_private_segment_wavefront_offset 0
		.amdhsa_system_sgpr_workgroup_id_x 1
		.amdhsa_system_sgpr_workgroup_id_y 0
		.amdhsa_system_sgpr_workgroup_id_z 0
		.amdhsa_system_sgpr_workgroup_info 0
		.amdhsa_system_vgpr_workitem_id 0
		.amdhsa_next_free_vgpr 20
		.amdhsa_next_free_sgpr 36
		.amdhsa_reserve_vcc 1
		.amdhsa_reserve_flat_scratch 0
		.amdhsa_float_round_mode_32 0
		.amdhsa_float_round_mode_16_64 0
		.amdhsa_float_denorm_mode_32 3
		.amdhsa_float_denorm_mode_16_64 3
		.amdhsa_dx10_clamp 1
		.amdhsa_ieee_mode 1
		.amdhsa_fp16_overflow 0
		.amdhsa_exception_fp_ieee_invalid_op 0
		.amdhsa_exception_fp_denorm_src 0
		.amdhsa_exception_fp_ieee_div_zero 0
		.amdhsa_exception_fp_ieee_overflow 0
		.amdhsa_exception_fp_ieee_underflow 0
		.amdhsa_exception_fp_ieee_inexact 0
		.amdhsa_exception_int_div_zero 0
	.end_amdhsa_kernel
	.section	.text._Z36dynamic_scaled_int8_azp_quant_kernelI6__halffiEvPKT_PaPT0_PT1_i,"axG",@progbits,_Z36dynamic_scaled_int8_azp_quant_kernelI6__halffiEvPKT_PaPT0_PT1_i,comdat
.Lfunc_end3:
	.size	_Z36dynamic_scaled_int8_azp_quant_kernelI6__halffiEvPKT_PaPT0_PT1_i, .Lfunc_end3-_Z36dynamic_scaled_int8_azp_quant_kernelI6__halffiEvPKT_PaPT0_PT1_i
                                        ; -- End function
	.set _Z36dynamic_scaled_int8_azp_quant_kernelI6__halffiEvPKT_PaPT0_PT1_i.num_vgpr, 20
	.set _Z36dynamic_scaled_int8_azp_quant_kernelI6__halffiEvPKT_PaPT0_PT1_i.num_agpr, 0
	.set _Z36dynamic_scaled_int8_azp_quant_kernelI6__halffiEvPKT_PaPT0_PT1_i.numbered_sgpr, 36
	.set _Z36dynamic_scaled_int8_azp_quant_kernelI6__halffiEvPKT_PaPT0_PT1_i.num_named_barrier, 0
	.set _Z36dynamic_scaled_int8_azp_quant_kernelI6__halffiEvPKT_PaPT0_PT1_i.private_seg_size, 0
	.set _Z36dynamic_scaled_int8_azp_quant_kernelI6__halffiEvPKT_PaPT0_PT1_i.uses_vcc, 1
	.set _Z36dynamic_scaled_int8_azp_quant_kernelI6__halffiEvPKT_PaPT0_PT1_i.uses_flat_scratch, 0
	.set _Z36dynamic_scaled_int8_azp_quant_kernelI6__halffiEvPKT_PaPT0_PT1_i.has_dyn_sized_stack, 0
	.set _Z36dynamic_scaled_int8_azp_quant_kernelI6__halffiEvPKT_PaPT0_PT1_i.has_recursion, 0
	.set _Z36dynamic_scaled_int8_azp_quant_kernelI6__halffiEvPKT_PaPT0_PT1_i.has_indirect_call, 0
	.section	.AMDGPU.csdata,"",@progbits
; Kernel info:
; codeLenInByte = 2112
; TotalNumSgprs: 40
; NumVgprs: 20
; ScratchSize: 0
; MemoryBound: 0
; FloatMode: 240
; IeeeMode: 1
; LDSByteSize: 72 bytes/workgroup (compile time only)
; SGPRBlocks: 4
; VGPRBlocks: 4
; NumSGPRsForWavesPerEU: 40
; NumVGPRsForWavesPerEU: 20
; Occupancy: 10
; WaveLimiterHint : 0
; COMPUTE_PGM_RSRC2:SCRATCH_EN: 0
; COMPUTE_PGM_RSRC2:USER_SGPR: 6
; COMPUTE_PGM_RSRC2:TRAP_HANDLER: 0
; COMPUTE_PGM_RSRC2:TGID_X_EN: 1
; COMPUTE_PGM_RSRC2:TGID_Y_EN: 0
; COMPUTE_PGM_RSRC2:TGID_Z_EN: 0
; COMPUTE_PGM_RSRC2:TIDIG_COMP_CNT: 0
	.section	.text._Z31static_scaled_int8_quant_kernelI12hip_bfloat16fEvPKT_PaT0_i,"axG",@progbits,_Z31static_scaled_int8_quant_kernelI12hip_bfloat16fEvPKT_PaT0_i,comdat
	.protected	_Z31static_scaled_int8_quant_kernelI12hip_bfloat16fEvPKT_PaT0_i ; -- Begin function _Z31static_scaled_int8_quant_kernelI12hip_bfloat16fEvPKT_PaT0_i
	.globl	_Z31static_scaled_int8_quant_kernelI12hip_bfloat16fEvPKT_PaT0_i
	.p2align	8
	.type	_Z31static_scaled_int8_quant_kernelI12hip_bfloat16fEvPKT_PaT0_i,@function
_Z31static_scaled_int8_quant_kernelI12hip_bfloat16fEvPKT_PaT0_i: ; @_Z31static_scaled_int8_quant_kernelI12hip_bfloat16fEvPKT_PaT0_i
; %bb.0:
	s_load_dwordx2 s[0:1], s[4:5], 0x10
	s_waitcnt lgkmcnt(0)
	v_cmp_gt_i32_e32 vcc, s1, v0
	s_and_saveexec_b64 s[2:3], vcc
	s_cbranch_execz .LBB4_3
; %bb.1:
	s_load_dwordx4 s[8:11], s[4:5], 0x0
	s_ashr_i32 s2, s1, 31
	s_mul_hi_u32 s3, s1, s6
	s_mul_i32 s2, s2, s6
	s_add_i32 s3, s3, s2
	s_mul_i32 s2, s1, s6
	s_load_dword s6, s[4:5], 0x24
	s_waitcnt lgkmcnt(0)
	s_add_u32 s4, s10, s2
	s_addc_u32 s10, s11, s3
	s_lshl_b64 s[2:3], s[2:3], 1
	s_add_u32 s5, s8, s2
	s_addc_u32 s7, s9, s3
	s_and_b32 s6, s6, 0xffff
	s_mov_b64 s[2:3], 0
	v_mov_b32_e32 v2, s7
	s_mov_b32 s7, 0x42fe0000
	v_mov_b32_e32 v3, 0x42fe0000
	s_mov_b32 s8, 0xc3000000
	v_mov_b32_e32 v4, 0xc3000000
	v_mov_b32_e32 v5, s10
.LBB4_2:                                ; =>This Inner Loop Header: Depth=1
	v_ashrrev_i32_e32 v1, 31, v0
	v_lshlrev_b64 v[6:7], 1, v[0:1]
	v_add_co_u32_e32 v6, vcc, s5, v6
	v_addc_co_u32_e32 v7, vcc, v2, v7, vcc
	global_load_ushort v6, v[6:7], off
	s_waitcnt vmcnt(0)
	v_lshlrev_b32_e32 v6, 16, v6
	v_div_scale_f32 v7, s[10:11], s0, s0, v6
	v_div_scale_f32 v8, vcc, v6, s0, v6
	v_rcp_f32_e32 v9, v7
	v_fma_f32 v10, -v7, v9, 1.0
	v_fmac_f32_e32 v9, v10, v9
	v_mul_f32_e32 v10, v8, v9
	v_fma_f32 v11, -v7, v10, v8
	v_fmac_f32_e32 v10, v11, v9
	v_fma_f32 v7, -v7, v10, v8
	v_div_fmas_f32 v7, v7, v9, v10
	v_div_fixup_f32 v6, v7, s0, v6
	v_rndne_f32_e32 v6, v6
	v_cmp_nlt_f32_e32 vcc, s7, v6
	v_cndmask_b32_e32 v7, v3, v6, vcc
	v_cmp_ngt_f32_e32 vcc, s8, v6
	v_cndmask_b32_e32 v6, v4, v7, vcc
	v_cvt_i32_f32_e32 v8, v6
	v_add_co_u32_e32 v6, vcc, s4, v0
	v_addc_co_u32_e32 v7, vcc, v5, v1, vcc
	v_add_u32_e32 v0, s6, v0
	v_cmp_le_i32_e32 vcc, s1, v0
	s_or_b64 s[2:3], vcc, s[2:3]
	global_store_byte v[6:7], v8, off
	s_andn2_b64 exec, exec, s[2:3]
	s_cbranch_execnz .LBB4_2
.LBB4_3:
	s_endpgm
	.section	.rodata,"a",@progbits
	.p2align	6, 0x0
	.amdhsa_kernel _Z31static_scaled_int8_quant_kernelI12hip_bfloat16fEvPKT_PaT0_i
		.amdhsa_group_segment_fixed_size 0
		.amdhsa_private_segment_fixed_size 0
		.amdhsa_kernarg_size 280
		.amdhsa_user_sgpr_count 6
		.amdhsa_user_sgpr_private_segment_buffer 1
		.amdhsa_user_sgpr_dispatch_ptr 0
		.amdhsa_user_sgpr_queue_ptr 0
		.amdhsa_user_sgpr_kernarg_segment_ptr 1
		.amdhsa_user_sgpr_dispatch_id 0
		.amdhsa_user_sgpr_flat_scratch_init 0
		.amdhsa_user_sgpr_private_segment_size 0
		.amdhsa_uses_dynamic_stack 0
		.amdhsa_system_sgpr_private_segment_wavefront_offset 0
		.amdhsa_system_sgpr_workgroup_id_x 1
		.amdhsa_system_sgpr_workgroup_id_y 0
		.amdhsa_system_sgpr_workgroup_id_z 0
		.amdhsa_system_sgpr_workgroup_info 0
		.amdhsa_system_vgpr_workitem_id 0
		.amdhsa_next_free_vgpr 12
		.amdhsa_next_free_sgpr 12
		.amdhsa_reserve_vcc 1
		.amdhsa_reserve_flat_scratch 0
		.amdhsa_float_round_mode_32 0
		.amdhsa_float_round_mode_16_64 0
		.amdhsa_float_denorm_mode_32 3
		.amdhsa_float_denorm_mode_16_64 3
		.amdhsa_dx10_clamp 1
		.amdhsa_ieee_mode 1
		.amdhsa_fp16_overflow 0
		.amdhsa_exception_fp_ieee_invalid_op 0
		.amdhsa_exception_fp_denorm_src 0
		.amdhsa_exception_fp_ieee_div_zero 0
		.amdhsa_exception_fp_ieee_overflow 0
		.amdhsa_exception_fp_ieee_underflow 0
		.amdhsa_exception_fp_ieee_inexact 0
		.amdhsa_exception_int_div_zero 0
	.end_amdhsa_kernel
	.section	.text._Z31static_scaled_int8_quant_kernelI12hip_bfloat16fEvPKT_PaT0_i,"axG",@progbits,_Z31static_scaled_int8_quant_kernelI12hip_bfloat16fEvPKT_PaT0_i,comdat
.Lfunc_end4:
	.size	_Z31static_scaled_int8_quant_kernelI12hip_bfloat16fEvPKT_PaT0_i, .Lfunc_end4-_Z31static_scaled_int8_quant_kernelI12hip_bfloat16fEvPKT_PaT0_i
                                        ; -- End function
	.set _Z31static_scaled_int8_quant_kernelI12hip_bfloat16fEvPKT_PaT0_i.num_vgpr, 12
	.set _Z31static_scaled_int8_quant_kernelI12hip_bfloat16fEvPKT_PaT0_i.num_agpr, 0
	.set _Z31static_scaled_int8_quant_kernelI12hip_bfloat16fEvPKT_PaT0_i.numbered_sgpr, 12
	.set _Z31static_scaled_int8_quant_kernelI12hip_bfloat16fEvPKT_PaT0_i.num_named_barrier, 0
	.set _Z31static_scaled_int8_quant_kernelI12hip_bfloat16fEvPKT_PaT0_i.private_seg_size, 0
	.set _Z31static_scaled_int8_quant_kernelI12hip_bfloat16fEvPKT_PaT0_i.uses_vcc, 1
	.set _Z31static_scaled_int8_quant_kernelI12hip_bfloat16fEvPKT_PaT0_i.uses_flat_scratch, 0
	.set _Z31static_scaled_int8_quant_kernelI12hip_bfloat16fEvPKT_PaT0_i.has_dyn_sized_stack, 0
	.set _Z31static_scaled_int8_quant_kernelI12hip_bfloat16fEvPKT_PaT0_i.has_recursion, 0
	.set _Z31static_scaled_int8_quant_kernelI12hip_bfloat16fEvPKT_PaT0_i.has_indirect_call, 0
	.section	.AMDGPU.csdata,"",@progbits
; Kernel info:
; codeLenInByte = 308
; TotalNumSgprs: 16
; NumVgprs: 12
; ScratchSize: 0
; MemoryBound: 0
; FloatMode: 240
; IeeeMode: 1
; LDSByteSize: 0 bytes/workgroup (compile time only)
; SGPRBlocks: 1
; VGPRBlocks: 2
; NumSGPRsForWavesPerEU: 16
; NumVGPRsForWavesPerEU: 12
; Occupancy: 10
; WaveLimiterHint : 0
; COMPUTE_PGM_RSRC2:SCRATCH_EN: 0
; COMPUTE_PGM_RSRC2:USER_SGPR: 6
; COMPUTE_PGM_RSRC2:TRAP_HANDLER: 0
; COMPUTE_PGM_RSRC2:TGID_X_EN: 1
; COMPUTE_PGM_RSRC2:TGID_Y_EN: 0
; COMPUTE_PGM_RSRC2:TGID_Z_EN: 0
; COMPUTE_PGM_RSRC2:TIDIG_COMP_CNT: 0
	.section	.text._Z35static_scaled_int8_azp_quant_kernelI12hip_bfloat16fiEvPKT_PaT0_T1_i,"axG",@progbits,_Z35static_scaled_int8_azp_quant_kernelI12hip_bfloat16fiEvPKT_PaT0_T1_i,comdat
	.protected	_Z35static_scaled_int8_azp_quant_kernelI12hip_bfloat16fiEvPKT_PaT0_T1_i ; -- Begin function _Z35static_scaled_int8_azp_quant_kernelI12hip_bfloat16fiEvPKT_PaT0_T1_i
	.globl	_Z35static_scaled_int8_azp_quant_kernelI12hip_bfloat16fiEvPKT_PaT0_T1_i
	.p2align	8
	.type	_Z35static_scaled_int8_azp_quant_kernelI12hip_bfloat16fiEvPKT_PaT0_T1_i,@function
_Z35static_scaled_int8_azp_quant_kernelI12hip_bfloat16fiEvPKT_PaT0_T1_i: ; @_Z35static_scaled_int8_azp_quant_kernelI12hip_bfloat16fiEvPKT_PaT0_T1_i
; %bb.0:
	s_load_dwordx4 s[0:3], s[4:5], 0x10
	s_waitcnt lgkmcnt(0)
	v_cmp_gt_i32_e32 vcc, s2, v0
	s_and_saveexec_b64 s[8:9], vcc
	s_cbranch_execz .LBB5_7
; %bb.1:
	s_load_dwordx4 s[8:11], s[4:5], 0x0
	s_load_dword s12, s[4:5], 0x2c
	s_ashr_i32 s3, s2, 31
	s_mul_hi_u32 s7, s2, s6
	s_mul_i32 s3, s3, s6
	s_add_i32 s7, s7, s3
	s_mul_i32 s6, s2, s6
	s_waitcnt lgkmcnt(0)
	s_add_u32 s3, s10, s6
	s_addc_u32 s15, s11, s7
	s_lshl_b64 s[4:5], s[6:7], 1
	s_add_u32 s10, s8, s4
	s_addc_u32 s6, s9, s5
	s_and_b32 s11, s12, 0xffff
	s_mov_b64 s[4:5], 0
	v_mov_b32_e32 v2, s6
	s_mov_b32 s12, 0x4f000000
	s_mov_b32 s13, 0xcf000000
	s_movk_i32 s14, 0xff80
	v_mov_b32_e32 v3, 0x7f
	v_mov_b32_e32 v4, s15
	s_branch .LBB5_4
.LBB5_2:                                ;   in Loop: Header=BB5_4 Depth=1
	s_or_b64 exec, exec, s[8:9]
.LBB5_3:                                ;   in Loop: Header=BB5_4 Depth=1
	s_or_b64 exec, exec, s[6:7]
	v_add_u32_e32 v5, s1, v5
	v_med3_i32 v7, v5, s14, v3
	v_add_co_u32_e32 v5, vcc, s3, v0
	v_addc_co_u32_e32 v6, vcc, v4, v1, vcc
	v_add_u32_e32 v0, s11, v0
	v_cmp_le_i32_e32 vcc, s2, v0
	s_or_b64 s[4:5], vcc, s[4:5]
	global_store_byte v[5:6], v7, off
	s_andn2_b64 exec, exec, s[4:5]
	s_cbranch_execz .LBB5_7
.LBB5_4:                                ; =>This Inner Loop Header: Depth=1
	v_ashrrev_i32_e32 v1, 31, v0
	v_lshlrev_b64 v[5:6], 1, v[0:1]
	v_add_co_u32_e32 v5, vcc, s10, v5
	v_addc_co_u32_e32 v6, vcc, v2, v6, vcc
	global_load_ushort v5, v[5:6], off
	s_waitcnt vmcnt(0)
	v_lshlrev_b32_e32 v5, 16, v5
	v_div_scale_f32 v6, s[6:7], s0, s0, v5
	v_div_scale_f32 v7, vcc, v5, s0, v5
	v_rcp_f32_e32 v8, v6
	v_fma_f32 v9, -v6, v8, 1.0
	v_fmac_f32_e32 v8, v9, v8
	v_mul_f32_e32 v9, v7, v8
	v_fma_f32 v10, -v6, v9, v7
	v_fmac_f32_e32 v9, v10, v8
	v_fma_f32 v6, -v6, v9, v7
	v_div_fmas_f32 v6, v6, v8, v9
	v_div_fixup_f32 v5, v6, s0, v5
	v_rndne_f32_e32 v6, v5
	v_cmp_nle_f32_e32 vcc, s12, v6
	v_bfrev_b32_e32 v5, -2
	s_and_saveexec_b64 s[6:7], vcc
	s_cbranch_execz .LBB5_3
; %bb.5:                                ;   in Loop: Header=BB5_4 Depth=1
	v_cmp_nge_f32_e32 vcc, s13, v6
	v_bfrev_b32_e32 v5, 1
	s_and_saveexec_b64 s[8:9], vcc
	s_cbranch_execz .LBB5_2
; %bb.6:                                ;   in Loop: Header=BB5_4 Depth=1
	v_cvt_i32_f32_e32 v5, v6
	s_branch .LBB5_2
.LBB5_7:
	s_endpgm
	.section	.rodata,"a",@progbits
	.p2align	6, 0x0
	.amdhsa_kernel _Z35static_scaled_int8_azp_quant_kernelI12hip_bfloat16fiEvPKT_PaT0_T1_i
		.amdhsa_group_segment_fixed_size 0
		.amdhsa_private_segment_fixed_size 0
		.amdhsa_kernarg_size 288
		.amdhsa_user_sgpr_count 6
		.amdhsa_user_sgpr_private_segment_buffer 1
		.amdhsa_user_sgpr_dispatch_ptr 0
		.amdhsa_user_sgpr_queue_ptr 0
		.amdhsa_user_sgpr_kernarg_segment_ptr 1
		.amdhsa_user_sgpr_dispatch_id 0
		.amdhsa_user_sgpr_flat_scratch_init 0
		.amdhsa_user_sgpr_private_segment_size 0
		.amdhsa_uses_dynamic_stack 0
		.amdhsa_system_sgpr_private_segment_wavefront_offset 0
		.amdhsa_system_sgpr_workgroup_id_x 1
		.amdhsa_system_sgpr_workgroup_id_y 0
		.amdhsa_system_sgpr_workgroup_id_z 0
		.amdhsa_system_sgpr_workgroup_info 0
		.amdhsa_system_vgpr_workitem_id 0
		.amdhsa_next_free_vgpr 11
		.amdhsa_next_free_sgpr 16
		.amdhsa_reserve_vcc 1
		.amdhsa_reserve_flat_scratch 0
		.amdhsa_float_round_mode_32 0
		.amdhsa_float_round_mode_16_64 0
		.amdhsa_float_denorm_mode_32 3
		.amdhsa_float_denorm_mode_16_64 3
		.amdhsa_dx10_clamp 1
		.amdhsa_ieee_mode 1
		.amdhsa_fp16_overflow 0
		.amdhsa_exception_fp_ieee_invalid_op 0
		.amdhsa_exception_fp_denorm_src 0
		.amdhsa_exception_fp_ieee_div_zero 0
		.amdhsa_exception_fp_ieee_overflow 0
		.amdhsa_exception_fp_ieee_underflow 0
		.amdhsa_exception_fp_ieee_inexact 0
		.amdhsa_exception_int_div_zero 0
	.end_amdhsa_kernel
	.section	.text._Z35static_scaled_int8_azp_quant_kernelI12hip_bfloat16fiEvPKT_PaT0_T1_i,"axG",@progbits,_Z35static_scaled_int8_azp_quant_kernelI12hip_bfloat16fiEvPKT_PaT0_T1_i,comdat
.Lfunc_end5:
	.size	_Z35static_scaled_int8_azp_quant_kernelI12hip_bfloat16fiEvPKT_PaT0_T1_i, .Lfunc_end5-_Z35static_scaled_int8_azp_quant_kernelI12hip_bfloat16fiEvPKT_PaT0_T1_i
                                        ; -- End function
	.set _Z35static_scaled_int8_azp_quant_kernelI12hip_bfloat16fiEvPKT_PaT0_T1_i.num_vgpr, 11
	.set _Z35static_scaled_int8_azp_quant_kernelI12hip_bfloat16fiEvPKT_PaT0_T1_i.num_agpr, 0
	.set _Z35static_scaled_int8_azp_quant_kernelI12hip_bfloat16fiEvPKT_PaT0_T1_i.numbered_sgpr, 16
	.set _Z35static_scaled_int8_azp_quant_kernelI12hip_bfloat16fiEvPKT_PaT0_T1_i.num_named_barrier, 0
	.set _Z35static_scaled_int8_azp_quant_kernelI12hip_bfloat16fiEvPKT_PaT0_T1_i.private_seg_size, 0
	.set _Z35static_scaled_int8_azp_quant_kernelI12hip_bfloat16fiEvPKT_PaT0_T1_i.uses_vcc, 1
	.set _Z35static_scaled_int8_azp_quant_kernelI12hip_bfloat16fiEvPKT_PaT0_T1_i.uses_flat_scratch, 0
	.set _Z35static_scaled_int8_azp_quant_kernelI12hip_bfloat16fiEvPKT_PaT0_T1_i.has_dyn_sized_stack, 0
	.set _Z35static_scaled_int8_azp_quant_kernelI12hip_bfloat16fiEvPKT_PaT0_T1_i.has_recursion, 0
	.set _Z35static_scaled_int8_azp_quant_kernelI12hip_bfloat16fiEvPKT_PaT0_T1_i.has_indirect_call, 0
	.section	.AMDGPU.csdata,"",@progbits
; Kernel info:
; codeLenInByte = 348
; TotalNumSgprs: 20
; NumVgprs: 11
; ScratchSize: 0
; MemoryBound: 0
; FloatMode: 240
; IeeeMode: 1
; LDSByteSize: 0 bytes/workgroup (compile time only)
; SGPRBlocks: 2
; VGPRBlocks: 2
; NumSGPRsForWavesPerEU: 20
; NumVGPRsForWavesPerEU: 11
; Occupancy: 10
; WaveLimiterHint : 0
; COMPUTE_PGM_RSRC2:SCRATCH_EN: 0
; COMPUTE_PGM_RSRC2:USER_SGPR: 6
; COMPUTE_PGM_RSRC2:TRAP_HANDLER: 0
; COMPUTE_PGM_RSRC2:TGID_X_EN: 1
; COMPUTE_PGM_RSRC2:TGID_Y_EN: 0
; COMPUTE_PGM_RSRC2:TGID_Z_EN: 0
; COMPUTE_PGM_RSRC2:TIDIG_COMP_CNT: 0
	.section	.text._Z32dynamic_scaled_int8_quant_kernelI12hip_bfloat16fEvPKT_PaPT0_i,"axG",@progbits,_Z32dynamic_scaled_int8_quant_kernelI12hip_bfloat16fEvPKT_PaPT0_i,comdat
	.protected	_Z32dynamic_scaled_int8_quant_kernelI12hip_bfloat16fEvPKT_PaPT0_i ; -- Begin function _Z32dynamic_scaled_int8_quant_kernelI12hip_bfloat16fEvPKT_PaPT0_i
	.globl	_Z32dynamic_scaled_int8_quant_kernelI12hip_bfloat16fEvPKT_PaPT0_i
	.p2align	8
	.type	_Z32dynamic_scaled_int8_quant_kernelI12hip_bfloat16fEvPKT_PaPT0_i,@function
_Z32dynamic_scaled_int8_quant_kernelI12hip_bfloat16fEvPKT_PaPT0_i: ; @_Z32dynamic_scaled_int8_quant_kernelI12hip_bfloat16fEvPKT_PaPT0_i
; %bb.0:
	s_load_dword s16, s[4:5], 0x18
	s_load_dwordx2 s[0:1], s[4:5], 0x0
                                        ; implicit-def: $sgpr14
	s_waitcnt lgkmcnt(0)
	s_ashr_i32 s2, s16, 31
	s_mul_hi_u32 s3, s16, s6
	s_mul_i32 s2, s2, s6
	s_add_i32 s11, s3, s2
	s_mul_i32 s10, s16, s6
	s_lshl_b64 s[2:3], s[10:11], 1
	s_add_u32 s17, s0, s2
	s_addc_u32 s18, s1, s3
	s_add_u32 s8, s4, 32
	v_cmp_gt_i32_e64 s[0:1], s16, v0
	v_cmp_le_i32_e32 vcc, s16, v0
	s_addc_u32 s9, s5, 0
	s_and_saveexec_b64 s[2:3], vcc
	s_xor_b64 s[2:3], exec, s[2:3]
	s_cbranch_execz .LBB6_2
; %bb.1:
	s_load_dword s7, s[8:9], 0xc
	s_waitcnt lgkmcnt(0)
	s_and_b32 s14, s7, 0xffff
.LBB6_2:
	s_or_saveexec_b64 s[2:3], s[2:3]
	s_load_dwordx2 s[12:13], s[4:5], 0x8
	s_mov_b32 s7, 0
	v_mov_b32_e32 v3, 0
	v_mov_b32_e32 v2, s14
	s_xor_b64 exec, exec, s[2:3]
	s_cbranch_execz .LBB6_6
; %bb.3:
	s_load_dword s14, s[8:9], 0xc
	v_mov_b32_e32 v3, 0
	s_mov_b64 s[8:9], 0
	v_mov_b32_e32 v4, s18
	v_mov_b32_e32 v1, v0
	s_waitcnt lgkmcnt(0)
	s_and_b32 s14, s14, 0xffff
.LBB6_4:                                ; =>This Inner Loop Header: Depth=1
	v_ashrrev_i32_e32 v2, 31, v1
	v_lshlrev_b64 v[5:6], 1, v[1:2]
	v_add_u32_e32 v1, s14, v1
	v_add_co_u32_e32 v5, vcc, s17, v5
	v_addc_co_u32_e32 v6, vcc, v4, v6, vcc
	global_load_ushort v2, v[5:6], off
	v_cmp_le_i32_e32 vcc, s16, v1
	s_or_b64 s[8:9], vcc, s[8:9]
	s_waitcnt vmcnt(0)
	v_lshlrev_b32_e32 v2, 16, v2
	v_cmp_lt_f32_e32 vcc, 0, v2
	v_cndmask_b32_e64 v2, -v2, v2, vcc
	v_cmp_gt_f32_e32 vcc, v2, v3
	v_cndmask_b32_e32 v3, v3, v2, vcc
	s_andn2_b64 exec, exec, s[8:9]
	s_cbranch_execnz .LBB6_4
; %bb.5:
	s_or_b64 exec, exec, s[8:9]
	v_mov_b32_e32 v2, s14
.LBB6_6:
	s_or_b64 exec, exec, s[2:3]
	v_mbcnt_lo_u32_b32 v1, -1, 0
	v_mbcnt_hi_u32_b32 v1, -1, v1
	v_and_b32_e32 v5, 63, v1
	v_cmp_ne_u32_e32 vcc, 63, v5
	v_addc_co_u32_e32 v4, vcc, 0, v1, vcc
	v_lshlrev_b32_e32 v4, 2, v4
	ds_bpermute_b32 v4, v4, v3
	v_and_b32_e32 v6, 0x3c0, v0
	v_sub_u32_e64 v6, v2, v6 clamp
	v_add_u32_e32 v7, 1, v5
	v_cmp_gt_u32_e64 s[2:3], 62, v5
	s_waitcnt lgkmcnt(0)
	v_cmp_lt_f32_e32 vcc, v3, v4
	v_cndmask_b32_e32 v4, v3, v4, vcc
	v_cmp_lt_u32_e32 vcc, v7, v6
	v_cndmask_b32_e64 v7, 0, 2, s[2:3]
	v_cndmask_b32_e32 v4, v3, v4, vcc
	v_add_lshl_u32 v7, v7, v1, 2
	ds_bpermute_b32 v7, v7, v4
	v_add_u32_e32 v8, 2, v5
	s_waitcnt lgkmcnt(0)
	v_cmp_lt_f32_e64 s[2:3], v4, v7
	v_cndmask_b32_e64 v7, v4, v7, s[2:3]
	v_cmp_lt_u32_e64 s[2:3], v8, v6
	v_cndmask_b32_e64 v4, v4, v7, s[2:3]
	v_cmp_gt_u32_e64 s[2:3], 60, v5
	v_cndmask_b32_e64 v7, 0, 4, s[2:3]
	v_add_lshl_u32 v7, v7, v1, 2
	ds_bpermute_b32 v7, v7, v4
	v_add_u32_e32 v8, 4, v5
	s_waitcnt lgkmcnt(0)
	v_cmp_lt_f32_e64 s[2:3], v4, v7
	v_cndmask_b32_e64 v7, v4, v7, s[2:3]
	v_cmp_lt_u32_e64 s[2:3], v8, v6
	v_cndmask_b32_e64 v4, v4, v7, s[2:3]
	v_cmp_gt_u32_e64 s[2:3], 56, v5
	v_cndmask_b32_e64 v7, 0, 8, s[2:3]
	;; [unrolled: 10-line block ×3, first 2 shown]
	v_add_lshl_u32 v7, v7, v1, 2
	ds_bpermute_b32 v7, v7, v4
	v_add_u32_e32 v8, 16, v5
	v_add_u32_e32 v5, 32, v5
	s_waitcnt lgkmcnt(0)
	v_cmp_lt_f32_e64 s[2:3], v4, v7
	v_cndmask_b32_e64 v7, v4, v7, s[2:3]
	v_cmp_lt_u32_e64 s[2:3], v8, v6
	v_cndmask_b32_e64 v7, v4, v7, s[2:3]
	v_lshlrev_b32_e32 v4, 2, v1
	v_or_b32_e32 v8, 0x80, v4
	ds_bpermute_b32 v8, v8, v7
	v_cmp_lt_u32_e64 s[2:3], v5, v6
	s_waitcnt lgkmcnt(0)
	v_cmp_lt_f32_e64 s[8:9], v7, v8
	s_and_b64 s[2:3], s[2:3], s[8:9]
	v_cndmask_b32_e64 v5, v7, v8, s[2:3]
	v_cndmask_b32_e32 v3, v3, v5, vcc
	v_cmp_eq_u32_e32 vcc, 0, v1
	s_and_saveexec_b64 s[2:3], vcc
; %bb.7:
	v_lshrrev_b32_e32 v5, 4, v0
	v_and_b32_e32 v5, 60, v5
	ds_write_b32 v5, v3
; %bb.8:
	s_or_b64 exec, exec, s[2:3]
	v_cmp_gt_u32_e32 vcc, 16, v0
	s_waitcnt lgkmcnt(0)
	s_barrier
	s_and_saveexec_b64 s[14:15], vcc
	s_cbranch_execz .LBB6_10
; %bb.9:
	ds_read_b32 v3, v4
	v_and_b32_e32 v5, 15, v1
	v_cmp_ne_u32_e32 vcc, 15, v5
	v_addc_co_u32_e32 v6, vcc, 0, v1, vcc
	v_lshlrev_b32_e32 v6, 2, v6
	s_waitcnt lgkmcnt(0)
	ds_bpermute_b32 v6, v6, v3
	v_add_u32_e32 v7, 63, v2
	v_lshrrev_b32_e32 v7, 6, v7
	v_add_u32_e32 v8, 1, v5
	v_cmp_gt_u32_e64 s[2:3], 14, v5
	s_waitcnt lgkmcnt(0)
	v_cmp_lt_f32_e32 vcc, v3, v6
	v_cndmask_b32_e32 v6, v3, v6, vcc
	v_cmp_lt_u32_e32 vcc, v8, v7
	v_cndmask_b32_e64 v8, 0, 2, s[2:3]
	v_cndmask_b32_e32 v6, v3, v6, vcc
	v_add_lshl_u32 v8, v8, v1, 2
	ds_bpermute_b32 v8, v8, v6
	v_add_u32_e32 v9, 2, v5
	v_or_b32_e32 v4, 32, v4
	s_waitcnt lgkmcnt(0)
	v_cmp_lt_f32_e64 s[2:3], v6, v8
	v_cndmask_b32_e64 v8, v6, v8, s[2:3]
	v_cmp_lt_u32_e64 s[2:3], v9, v7
	v_cndmask_b32_e64 v6, v6, v8, s[2:3]
	v_cmp_gt_u32_e64 s[2:3], 12, v5
	v_cndmask_b32_e64 v8, 0, 4, s[2:3]
	v_add_lshl_u32 v1, v8, v1, 2
	ds_bpermute_b32 v1, v1, v6
	v_add_u32_e32 v8, 4, v5
	v_add_u32_e32 v5, 8, v5
	s_waitcnt lgkmcnt(0)
	v_cmp_lt_f32_e64 s[2:3], v6, v1
	v_cndmask_b32_e64 v1, v6, v1, s[2:3]
	v_cmp_lt_u32_e64 s[2:3], v8, v7
	v_cndmask_b32_e64 v1, v6, v1, s[2:3]
	ds_bpermute_b32 v4, v4, v1
	v_cmp_lt_u32_e64 s[2:3], v5, v7
	s_waitcnt lgkmcnt(0)
	v_cmp_lt_f32_e64 s[8:9], v1, v4
	s_and_b64 s[2:3], s[2:3], s[8:9]
	v_cndmask_b32_e64 v1, v1, v4, s[2:3]
	v_cndmask_b32_e32 v3, v3, v1, vcc
.LBB6_10:
	s_or_b64 exec, exec, s[14:15]
	v_cmp_eq_u32_e32 vcc, 0, v0
	s_and_saveexec_b64 s[2:3], vcc
	s_cbranch_execz .LBB6_12
; %bb.11:
	s_mov_b32 s14, 0x42fe0000
	v_div_scale_f32 v1, s[8:9], s14, s14, v3
	v_div_scale_f32 v4, vcc, v3, s14, v3
	s_load_dwordx2 s[4:5], s[4:5], 0x10
	s_lshl_b64 s[6:7], s[6:7], 2
	s_waitcnt lgkmcnt(0)
	s_add_u32 s4, s4, s6
	s_addc_u32 s5, s5, s7
	v_rcp_f32_e32 v5, v1
	v_fma_f32 v6, -v1, v5, 1.0
	v_fmac_f32_e32 v5, v6, v5
	v_mul_f32_e32 v6, v4, v5
	v_fma_f32 v7, -v1, v6, v4
	v_fmac_f32_e32 v6, v7, v5
	v_fma_f32 v1, -v1, v6, v4
	v_div_fmas_f32 v1, v1, v5, v6
	v_mov_b32_e32 v4, 0
	ds_write_b32 v4, v3 offset:64
	v_div_fixup_f32 v1, v1, s14, v3
	global_store_dword v4, v1, s[4:5]
.LBB6_12:
	s_or_b64 exec, exec, s[2:3]
	s_waitcnt vmcnt(0) lgkmcnt(0)
	s_barrier
	s_and_saveexec_b64 s[2:3], s[0:1]
	s_cbranch_execz .LBB6_15
; %bb.13:
	v_mov_b32_e32 v1, 0
	ds_read_b32 v1, v1 offset:64
	s_mov_b32 s2, 0x42fe0000
	s_add_u32 s3, s12, s10
	s_addc_u32 s5, s13, s11
	s_mov_b32 s4, 0xc3000000
	s_waitcnt lgkmcnt(0)
	v_div_scale_f32 v3, s[0:1], v1, v1, s2
	v_div_scale_f32 v4, vcc, s2, v1, s2
	s_mov_b64 s[0:1], 0
	v_rcp_f32_e32 v5, v3
	v_fma_f32 v6, -v3, v5, 1.0
	v_fmac_f32_e32 v5, v6, v5
	v_mul_f32_e32 v6, v4, v5
	v_fma_f32 v7, -v3, v6, v4
	v_fmac_f32_e32 v6, v7, v5
	v_fma_f32 v3, -v3, v6, v4
	v_div_fmas_f32 v6, v3, v5, v6
	v_mov_b32_e32 v3, s18
	v_mov_b32_e32 v4, 0x42fe0000
	;; [unrolled: 1-line block ×4, first 2 shown]
	v_div_fixup_f32 v6, v6, v1, s2
.LBB6_14:                               ; =>This Inner Loop Header: Depth=1
	v_ashrrev_i32_e32 v1, 31, v0
	v_lshlrev_b64 v[8:9], 1, v[0:1]
	v_add_co_u32_e32 v8, vcc, s17, v8
	v_addc_co_u32_e32 v9, vcc, v3, v9, vcc
	global_load_ushort v8, v[8:9], off
	s_waitcnt vmcnt(0)
	v_lshlrev_b32_e32 v8, 16, v8
	v_mul_f32_e32 v8, v6, v8
	v_rndne_f32_e32 v8, v8
	v_cmp_nlt_f32_e32 vcc, s2, v8
	v_cndmask_b32_e32 v9, v4, v8, vcc
	v_cmp_ngt_f32_e32 vcc, s4, v8
	v_cndmask_b32_e32 v8, v5, v9, vcc
	v_cvt_i32_f32_e32 v10, v8
	v_add_co_u32_e32 v8, vcc, s3, v0
	v_addc_co_u32_e32 v9, vcc, v7, v1, vcc
	v_add_u32_e32 v0, v0, v2
	v_cmp_le_i32_e32 vcc, s16, v0
	s_or_b64 s[0:1], vcc, s[0:1]
	global_store_byte v[8:9], v10, off
	s_andn2_b64 exec, exec, s[0:1]
	s_cbranch_execnz .LBB6_14
.LBB6_15:
	s_endpgm
	.section	.rodata,"a",@progbits
	.p2align	6, 0x0
	.amdhsa_kernel _Z32dynamic_scaled_int8_quant_kernelI12hip_bfloat16fEvPKT_PaPT0_i
		.amdhsa_group_segment_fixed_size 68
		.amdhsa_private_segment_fixed_size 0
		.amdhsa_kernarg_size 288
		.amdhsa_user_sgpr_count 6
		.amdhsa_user_sgpr_private_segment_buffer 1
		.amdhsa_user_sgpr_dispatch_ptr 0
		.amdhsa_user_sgpr_queue_ptr 0
		.amdhsa_user_sgpr_kernarg_segment_ptr 1
		.amdhsa_user_sgpr_dispatch_id 0
		.amdhsa_user_sgpr_flat_scratch_init 0
		.amdhsa_user_sgpr_private_segment_size 0
		.amdhsa_uses_dynamic_stack 0
		.amdhsa_system_sgpr_private_segment_wavefront_offset 0
		.amdhsa_system_sgpr_workgroup_id_x 1
		.amdhsa_system_sgpr_workgroup_id_y 0
		.amdhsa_system_sgpr_workgroup_id_z 0
		.amdhsa_system_sgpr_workgroup_info 0
		.amdhsa_system_vgpr_workitem_id 0
		.amdhsa_next_free_vgpr 11
		.amdhsa_next_free_sgpr 19
		.amdhsa_reserve_vcc 1
		.amdhsa_reserve_flat_scratch 0
		.amdhsa_float_round_mode_32 0
		.amdhsa_float_round_mode_16_64 0
		.amdhsa_float_denorm_mode_32 3
		.amdhsa_float_denorm_mode_16_64 3
		.amdhsa_dx10_clamp 1
		.amdhsa_ieee_mode 1
		.amdhsa_fp16_overflow 0
		.amdhsa_exception_fp_ieee_invalid_op 0
		.amdhsa_exception_fp_denorm_src 0
		.amdhsa_exception_fp_ieee_div_zero 0
		.amdhsa_exception_fp_ieee_overflow 0
		.amdhsa_exception_fp_ieee_underflow 0
		.amdhsa_exception_fp_ieee_inexact 0
		.amdhsa_exception_int_div_zero 0
	.end_amdhsa_kernel
	.section	.text._Z32dynamic_scaled_int8_quant_kernelI12hip_bfloat16fEvPKT_PaPT0_i,"axG",@progbits,_Z32dynamic_scaled_int8_quant_kernelI12hip_bfloat16fEvPKT_PaPT0_i,comdat
.Lfunc_end6:
	.size	_Z32dynamic_scaled_int8_quant_kernelI12hip_bfloat16fEvPKT_PaPT0_i, .Lfunc_end6-_Z32dynamic_scaled_int8_quant_kernelI12hip_bfloat16fEvPKT_PaPT0_i
                                        ; -- End function
	.set _Z32dynamic_scaled_int8_quant_kernelI12hip_bfloat16fEvPKT_PaPT0_i.num_vgpr, 11
	.set _Z32dynamic_scaled_int8_quant_kernelI12hip_bfloat16fEvPKT_PaPT0_i.num_agpr, 0
	.set _Z32dynamic_scaled_int8_quant_kernelI12hip_bfloat16fEvPKT_PaPT0_i.numbered_sgpr, 19
	.set _Z32dynamic_scaled_int8_quant_kernelI12hip_bfloat16fEvPKT_PaPT0_i.num_named_barrier, 0
	.set _Z32dynamic_scaled_int8_quant_kernelI12hip_bfloat16fEvPKT_PaPT0_i.private_seg_size, 0
	.set _Z32dynamic_scaled_int8_quant_kernelI12hip_bfloat16fEvPKT_PaPT0_i.uses_vcc, 1
	.set _Z32dynamic_scaled_int8_quant_kernelI12hip_bfloat16fEvPKT_PaPT0_i.uses_flat_scratch, 0
	.set _Z32dynamic_scaled_int8_quant_kernelI12hip_bfloat16fEvPKT_PaPT0_i.has_dyn_sized_stack, 0
	.set _Z32dynamic_scaled_int8_quant_kernelI12hip_bfloat16fEvPKT_PaPT0_i.has_recursion, 0
	.set _Z32dynamic_scaled_int8_quant_kernelI12hip_bfloat16fEvPKT_PaPT0_i.has_indirect_call, 0
	.section	.AMDGPU.csdata,"",@progbits
; Kernel info:
; codeLenInByte = 1404
; TotalNumSgprs: 23
; NumVgprs: 11
; ScratchSize: 0
; MemoryBound: 0
; FloatMode: 240
; IeeeMode: 1
; LDSByteSize: 68 bytes/workgroup (compile time only)
; SGPRBlocks: 2
; VGPRBlocks: 2
; NumSGPRsForWavesPerEU: 23
; NumVGPRsForWavesPerEU: 11
; Occupancy: 10
; WaveLimiterHint : 0
; COMPUTE_PGM_RSRC2:SCRATCH_EN: 0
; COMPUTE_PGM_RSRC2:USER_SGPR: 6
; COMPUTE_PGM_RSRC2:TRAP_HANDLER: 0
; COMPUTE_PGM_RSRC2:TGID_X_EN: 1
; COMPUTE_PGM_RSRC2:TGID_Y_EN: 0
; COMPUTE_PGM_RSRC2:TGID_Z_EN: 0
; COMPUTE_PGM_RSRC2:TIDIG_COMP_CNT: 0
	.section	.text._Z36dynamic_scaled_int8_azp_quant_kernelI12hip_bfloat16fiEvPKT_PaPT0_PT1_i,"axG",@progbits,_Z36dynamic_scaled_int8_azp_quant_kernelI12hip_bfloat16fiEvPKT_PaPT0_PT1_i,comdat
	.protected	_Z36dynamic_scaled_int8_azp_quant_kernelI12hip_bfloat16fiEvPKT_PaPT0_PT1_i ; -- Begin function _Z36dynamic_scaled_int8_azp_quant_kernelI12hip_bfloat16fiEvPKT_PaPT0_PT1_i
	.globl	_Z36dynamic_scaled_int8_azp_quant_kernelI12hip_bfloat16fiEvPKT_PaPT0_PT1_i
	.p2align	8
	.type	_Z36dynamic_scaled_int8_azp_quant_kernelI12hip_bfloat16fiEvPKT_PaPT0_PT1_i,@function
_Z36dynamic_scaled_int8_azp_quant_kernelI12hip_bfloat16fiEvPKT_PaPT0_PT1_i: ; @_Z36dynamic_scaled_int8_azp_quant_kernelI12hip_bfloat16fiEvPKT_PaPT0_PT1_i
; %bb.0:
	s_load_dword s33, s[4:5], 0x20
	s_load_dwordx2 s[0:1], s[4:5], 0x0
                                        ; implicit-def: $sgpr10
	s_waitcnt lgkmcnt(0)
	s_ashr_i32 s2, s33, 31
	s_mul_hi_u32 s3, s33, s6
	s_mul_i32 s2, s2, s6
	s_add_i32 s27, s3, s2
	s_mul_i32 s26, s33, s6
	s_lshl_b64 s[2:3], s[26:27], 1
	s_add_u32 s34, s0, s2
	s_addc_u32 s35, s1, s3
	s_add_u32 s8, s4, 40
	v_cmp_gt_i32_e64 s[0:1], s33, v0
	v_cmp_le_i32_e32 vcc, s33, v0
	s_addc_u32 s9, s5, 0
	s_and_saveexec_b64 s[2:3], vcc
	s_xor_b64 s[2:3], exec, s[2:3]
	s_cbranch_execz .LBB7_2
; %bb.1:
	s_load_dword s7, s[8:9], 0xc
	s_waitcnt lgkmcnt(0)
	s_and_b32 s10, s7, 0xffff
.LBB7_2:
	s_or_saveexec_b64 s[2:3], s[2:3]
	s_load_dwordx2 s[28:29], s[4:5], 0x8
	s_mov_b32 s7, 0
	v_mov_b32_e32 v3, 0x7f7fffff
	v_mov_b32_e32 v5, 0x800000
	;; [unrolled: 1-line block ×3, first 2 shown]
	s_xor_b64 exec, exec, s[2:3]
	s_cbranch_execz .LBB7_6
; %bb.3:
	s_load_dword s10, s[8:9], 0xc
	v_mov_b32_e32 v3, 0x7f7fffff
	v_mov_b32_e32 v5, 0x800000
	s_mov_b64 s[8:9], 0
	v_mov_b32_e32 v4, s35
	s_waitcnt lgkmcnt(0)
	s_and_b32 s10, s10, 0xffff
	v_mov_b32_e32 v1, v0
.LBB7_4:                                ; =>This Inner Loop Header: Depth=1
	v_ashrrev_i32_e32 v2, 31, v1
	v_lshlrev_b64 v[6:7], 1, v[1:2]
	v_add_u32_e32 v1, s10, v1
	v_add_co_u32_e32 v6, vcc, s34, v6
	v_addc_co_u32_e32 v7, vcc, v4, v7, vcc
	global_load_ushort v2, v[6:7], off
	v_cmp_le_i32_e32 vcc, s33, v1
	s_or_b64 s[8:9], vcc, s[8:9]
	s_waitcnt vmcnt(0)
	v_lshlrev_b32_e32 v2, 16, v2
	v_cmp_lt_f32_e32 vcc, v5, v2
	v_cndmask_b32_e32 v5, v5, v2, vcc
	v_cmp_gt_f32_e32 vcc, v3, v2
	v_cndmask_b32_e32 v3, v3, v2, vcc
	s_andn2_b64 exec, exec, s[8:9]
	s_cbranch_execnz .LBB7_4
; %bb.5:
	s_or_b64 exec, exec, s[8:9]
	v_mov_b32_e32 v4, s10
.LBB7_6:
	s_or_b64 exec, exec, s[2:3]
	v_mbcnt_lo_u32_b32 v1, -1, 0
	v_mbcnt_hi_u32_b32 v1, -1, v1
	v_and_b32_e32 v2, 63, v1
	v_cmp_ne_u32_e32 vcc, 63, v2
	v_addc_co_u32_e32 v6, vcc, 0, v1, vcc
	v_lshlrev_b32_e32 v6, 2, v6
	ds_bpermute_b32 v7, v6, v5
	v_and_b32_e32 v8, 0x3c0, v0
	v_sub_u32_e64 v12, v4, v8 clamp
	v_add_u32_e32 v8, 1, v2
	v_cmp_gt_u32_e64 s[2:3], 62, v2
	s_waitcnt lgkmcnt(0)
	v_cmp_lt_f32_e32 vcc, v5, v7
	v_cndmask_b32_e32 v7, v5, v7, vcc
	v_cmp_lt_u32_e32 vcc, v8, v12
	v_cndmask_b32_e64 v8, 0, 2, s[2:3]
	v_cndmask_b32_e32 v7, v5, v7, vcc
	v_add_lshl_u32 v9, v8, v1, 2
	ds_bpermute_b32 v8, v9, v7
	v_add_u32_e32 v10, 2, v2
	v_cmp_gt_u32_e64 s[8:9], 60, v2
	v_add_u32_e32 v11, 4, v2
	v_cmp_gt_u32_e64 s[10:11], 56, v2
	s_waitcnt lgkmcnt(0)
	v_cmp_lt_f32_e64 s[2:3], v7, v8
	v_cndmask_b32_e64 v8, v7, v8, s[2:3]
	v_cmp_lt_u32_e64 s[2:3], v10, v12
	v_cndmask_b32_e64 v7, v7, v8, s[2:3]
	v_cndmask_b32_e64 v8, 0, 4, s[8:9]
	v_add_lshl_u32 v10, v8, v1, 2
	ds_bpermute_b32 v8, v10, v7
	v_add_u32_e32 v13, 8, v2
	v_cmp_gt_u32_e64 s[12:13], 48, v2
	v_add_u32_e32 v14, 16, v2
	v_add_u32_e32 v2, 32, v2
	s_waitcnt lgkmcnt(0)
	v_cmp_lt_f32_e64 s[8:9], v7, v8
	v_cndmask_b32_e64 v8, v7, v8, s[8:9]
	v_cmp_lt_u32_e64 s[8:9], v11, v12
	v_cndmask_b32_e64 v7, v7, v8, s[8:9]
	v_cndmask_b32_e64 v8, 0, 8, s[10:11]
	v_add_lshl_u32 v11, v8, v1, 2
	ds_bpermute_b32 v8, v11, v7
	v_cmp_lt_u32_e64 s[14:15], v2, v12
	s_waitcnt lgkmcnt(0)
	v_cmp_lt_f32_e64 s[10:11], v7, v8
	v_cndmask_b32_e64 v8, v7, v8, s[10:11]
	v_cmp_lt_u32_e64 s[10:11], v13, v12
	v_cndmask_b32_e64 v7, v7, v8, s[10:11]
	v_cndmask_b32_e64 v8, 0, 16, s[12:13]
	v_add_lshl_u32 v13, v8, v1, 2
	ds_bpermute_b32 v8, v13, v7
	s_waitcnt lgkmcnt(0)
	v_cmp_lt_f32_e64 s[12:13], v7, v8
	v_cndmask_b32_e64 v8, v7, v8, s[12:13]
	v_cmp_lt_u32_e64 s[12:13], v14, v12
	v_cndmask_b32_e64 v7, v7, v8, s[12:13]
	v_lshlrev_b32_e32 v8, 2, v1
	v_or_b32_e32 v15, 0x80, v8
	ds_bpermute_b32 v14, v15, v7
	s_waitcnt lgkmcnt(0)
	v_cmp_lt_f32_e64 s[16:17], v7, v14
	s_and_b64 s[16:17], s[14:15], s[16:17]
	v_cndmask_b32_e64 v2, v7, v14, s[16:17]
	v_cndmask_b32_e32 v7, v5, v2, vcc
	v_cmp_eq_u32_e64 s[16:17], 0, v1
	v_lshrrev_b32_e32 v14, 4, v0
	s_and_saveexec_b64 s[18:19], s[16:17]
; %bb.7:
	v_and_b32_e32 v2, 60, v14
	ds_write_b32 v2, v7
; %bb.8:
	s_or_b64 exec, exec, s[18:19]
	v_cmp_gt_u32_e64 s[18:19], 16, v0
	v_add_u32_e32 v12, 63, v4
	v_and_b32_e32 v2, 15, v1
	v_or_b32_e32 v5, 32, v8
	s_waitcnt lgkmcnt(0)
	s_barrier
	s_and_saveexec_b64 s[30:31], s[18:19]
	s_cbranch_execz .LBB7_10
; %bb.9:
	ds_read_b32 v7, v8
	v_cmp_ne_u32_e64 s[20:21], 15, v2
	v_addc_co_u32_e64 v16, s[20:21], 0, v1, s[20:21]
	v_lshlrev_b32_e32 v16, 2, v16
	s_waitcnt lgkmcnt(0)
	ds_bpermute_b32 v16, v16, v7
	v_lshrrev_b32_e32 v17, 6, v12
	v_add_u32_e32 v18, 1, v2
	v_cmp_gt_u32_e64 s[22:23], 14, v2
	v_add_u32_e32 v19, 2, v2
	s_waitcnt lgkmcnt(0)
	v_cmp_lt_f32_e64 s[20:21], v7, v16
	v_cndmask_b32_e64 v16, v7, v16, s[20:21]
	v_cmp_lt_u32_e64 s[20:21], v18, v17
	v_cndmask_b32_e64 v18, 0, 2, s[22:23]
	v_cndmask_b32_e64 v16, v7, v16, s[20:21]
	v_add_lshl_u32 v18, v18, v1, 2
	ds_bpermute_b32 v18, v18, v16
	s_waitcnt lgkmcnt(0)
	v_cmp_lt_f32_e64 s[22:23], v16, v18
	v_cndmask_b32_e64 v18, v16, v18, s[22:23]
	v_cmp_lt_u32_e64 s[22:23], v19, v17
	v_cndmask_b32_e64 v16, v16, v18, s[22:23]
	v_cmp_gt_u32_e64 s[22:23], 12, v2
	v_cndmask_b32_e64 v18, 0, 4, s[22:23]
	v_add_lshl_u32 v18, v18, v1, 2
	ds_bpermute_b32 v18, v18, v16
	v_add_u32_e32 v19, 4, v2
	s_waitcnt lgkmcnt(0)
	v_cmp_lt_f32_e64 s[22:23], v16, v18
	v_cndmask_b32_e64 v18, v16, v18, s[22:23]
	v_cmp_lt_u32_e64 s[22:23], v19, v17
	v_cndmask_b32_e64 v16, v16, v18, s[22:23]
	ds_bpermute_b32 v18, v5, v16
	v_add_u32_e32 v19, 8, v2
	v_cmp_lt_u32_e64 s[22:23], v19, v17
	s_waitcnt lgkmcnt(0)
	v_cmp_lt_f32_e64 s[24:25], v16, v18
	s_and_b64 s[22:23], s[22:23], s[24:25]
	v_cndmask_b32_e64 v16, v16, v18, s[22:23]
	v_cndmask_b32_e64 v7, v7, v16, s[20:21]
.LBB7_10:
	s_or_b64 exec, exec, s[30:31]
	ds_bpermute_b32 v6, v6, v3
	s_waitcnt lgkmcnt(0)
	s_barrier
	v_cmp_gt_f32_e64 s[20:21], v3, v6
	v_cndmask_b32_e64 v6, v3, v6, s[20:21]
	v_cndmask_b32_e32 v6, v3, v6, vcc
	ds_bpermute_b32 v9, v9, v6
	s_waitcnt lgkmcnt(0)
	v_cmp_gt_f32_e64 s[20:21], v6, v9
	v_cndmask_b32_e64 v9, v6, v9, s[20:21]
	v_cndmask_b32_e64 v6, v6, v9, s[2:3]
	ds_bpermute_b32 v9, v10, v6
	s_waitcnt lgkmcnt(0)
	v_cmp_gt_f32_e64 s[2:3], v6, v9
	v_cndmask_b32_e64 v9, v6, v9, s[2:3]
	v_cndmask_b32_e64 v6, v6, v9, s[8:9]
	;; [unrolled: 5-line block ×4, first 2 shown]
	ds_bpermute_b32 v9, v15, v6
	s_waitcnt lgkmcnt(0)
	v_cmp_gt_f32_e64 s[2:3], v6, v9
	s_and_b64 s[2:3], s[14:15], s[2:3]
	v_cndmask_b32_e64 v6, v6, v9, s[2:3]
	v_cndmask_b32_e32 v3, v3, v6, vcc
	s_and_saveexec_b64 s[2:3], s[16:17]
; %bb.11:
	v_and_b32_e32 v6, 60, v14
	ds_write_b32 v6, v3
; %bb.12:
	s_or_b64 exec, exec, s[2:3]
	s_waitcnt lgkmcnt(0)
	s_barrier
	s_and_saveexec_b64 s[10:11], s[18:19]
	s_cbranch_execz .LBB7_14
; %bb.13:
	ds_read_b32 v3, v8
	v_cmp_ne_u32_e32 vcc, 15, v2
	v_addc_co_u32_e32 v6, vcc, 0, v1, vcc
	v_lshlrev_b32_e32 v6, 2, v6
	s_waitcnt lgkmcnt(0)
	ds_bpermute_b32 v6, v6, v3
	v_lshrrev_b32_e32 v8, 6, v12
	v_add_u32_e32 v9, 1, v2
	v_cmp_gt_u32_e64 s[2:3], 14, v2
	v_add_u32_e32 v10, 2, v2
	s_waitcnt lgkmcnt(0)
	v_cmp_gt_f32_e32 vcc, v3, v6
	v_cndmask_b32_e32 v6, v3, v6, vcc
	v_cmp_lt_u32_e32 vcc, v9, v8
	v_cndmask_b32_e64 v9, 0, 2, s[2:3]
	v_cndmask_b32_e32 v6, v3, v6, vcc
	v_add_lshl_u32 v9, v9, v1, 2
	ds_bpermute_b32 v9, v9, v6
	s_waitcnt lgkmcnt(0)
	v_cmp_gt_f32_e64 s[2:3], v6, v9
	v_cndmask_b32_e64 v9, v6, v9, s[2:3]
	v_cmp_lt_u32_e64 s[2:3], v10, v8
	v_cndmask_b32_e64 v6, v6, v9, s[2:3]
	v_cmp_gt_u32_e64 s[2:3], 12, v2
	v_cndmask_b32_e64 v9, 0, 4, s[2:3]
	v_add_lshl_u32 v1, v9, v1, 2
	ds_bpermute_b32 v1, v1, v6
	v_add_u32_e32 v9, 4, v2
	v_add_u32_e32 v2, 8, v2
	s_waitcnt lgkmcnt(0)
	v_cmp_gt_f32_e64 s[2:3], v6, v1
	v_cndmask_b32_e64 v1, v6, v1, s[2:3]
	v_cmp_lt_u32_e64 s[2:3], v9, v8
	v_cndmask_b32_e64 v1, v6, v1, s[2:3]
	ds_bpermute_b32 v5, v5, v1
	v_cmp_lt_u32_e64 s[2:3], v2, v8
	s_waitcnt lgkmcnt(0)
	v_cmp_gt_f32_e64 s[8:9], v1, v5
	s_and_b64 s[2:3], s[2:3], s[8:9]
	v_cndmask_b32_e64 v1, v1, v5, s[2:3]
	v_cndmask_b32_e32 v3, v3, v1, vcc
.LBB7_14:
	s_or_b64 exec, exec, s[10:11]
	v_cmp_eq_u32_e32 vcc, 0, v0
	s_and_saveexec_b64 s[2:3], vcc
	s_cbranch_execz .LBB7_16
; %bb.15:
	v_sub_f32_e32 v1, v7, v3
	s_mov_b32 s10, 0x437f0000
	v_div_scale_f32 v2, s[8:9], s10, s10, v1
	v_div_scale_f32 v5, vcc, v1, s10, v1
	v_rcp_f32_e32 v6, v2
	v_fma_f32 v7, -v2, v6, 1.0
	v_fmac_f32_e32 v6, v7, v6
	v_mul_f32_e32 v7, v5, v6
	v_fma_f32 v8, -v2, v7, v5
	v_fmac_f32_e32 v7, v8, v6
	v_fma_f32 v2, -v2, v7, v5
	v_div_fmas_f32 v2, v2, v6, v7
	v_div_fixup_f32 v2, v2, s10, v1
	v_div_scale_f32 v1, s[8:9], v2, v2, v3
	v_div_scale_f32 v5, vcc, v3, v2, v3
	s_load_dwordx4 s[8:11], s[4:5], 0x10
	s_lshl_b64 s[4:5], s[6:7], 2
	s_waitcnt lgkmcnt(0)
	s_add_u32 s6, s8, s4
	s_addc_u32 s7, s9, s5
	s_add_u32 s4, s10, s4
	s_addc_u32 s5, s11, s5
	v_rcp_f32_e32 v6, v1
	v_fma_f32 v7, -v1, v6, 1.0
	v_fmac_f32_e32 v6, v7, v6
	v_mul_f32_e32 v7, v5, v6
	v_fma_f32 v8, -v1, v7, v5
	v_fmac_f32_e32 v7, v8, v6
	v_fma_f32 v1, -v1, v7, v5
	v_div_fmas_f32 v1, v1, v6, v7
	v_mov_b32_e32 v5, 0
	global_store_dword v5, v2, s[6:7]
	v_div_fixup_f32 v1, v1, v2, v3
	v_sub_f32_e32 v1, 0xc3000000, v1
	v_rndne_f32_e32 v1, v1
	v_cvt_i32_f32_e32 v1, v1
	ds_write_b64 v5, v[1:2] offset:64
	global_store_dword v5, v1, s[4:5]
.LBB7_16:
	s_or_b64 exec, exec, s[2:3]
	s_waitcnt vmcnt(0) lgkmcnt(0)
	s_barrier
	s_and_saveexec_b64 s[2:3], s[0:1]
	s_cbranch_execz .LBB7_23
; %bb.17:
	v_mov_b32_e32 v1, 0
	ds_read_b64 v[2:3], v1 offset:64
	s_add_u32 s6, s28, s26
	s_addc_u32 s2, s29, s27
	s_mov_b64 s[0:1], 0
	v_mov_b32_e32 v5, s35
	s_mov_b32 s7, 0x4f000000
	s_mov_b32 s8, 0xcf000000
	s_movk_i32 s9, 0xff80
	v_mov_b32_e32 v6, 0x7f
	v_mov_b32_e32 v7, s2
	s_branch .LBB7_20
.LBB7_18:                               ;   in Loop: Header=BB7_20 Depth=1
	s_or_b64 exec, exec, s[4:5]
.LBB7_19:                               ;   in Loop: Header=BB7_20 Depth=1
	s_or_b64 exec, exec, s[2:3]
	v_add_u32_e32 v8, v8, v2
	v_med3_i32 v10, v8, s9, v6
	v_add_co_u32_e32 v8, vcc, s6, v0
	v_addc_co_u32_e32 v9, vcc, v7, v1, vcc
	v_add_u32_e32 v0, v0, v4
	v_cmp_le_i32_e32 vcc, s33, v0
	s_or_b64 s[0:1], vcc, s[0:1]
	global_store_byte v[8:9], v10, off
	s_andn2_b64 exec, exec, s[0:1]
	s_cbranch_execz .LBB7_23
.LBB7_20:                               ; =>This Inner Loop Header: Depth=1
	v_ashrrev_i32_e32 v1, 31, v0
	v_lshlrev_b64 v[8:9], 1, v[0:1]
	v_add_co_u32_e32 v8, vcc, s34, v8
	v_addc_co_u32_e32 v9, vcc, v5, v9, vcc
	global_load_ushort v8, v[8:9], off
	s_waitcnt vmcnt(0)
	v_lshlrev_b32_e32 v8, 16, v8
	s_waitcnt lgkmcnt(0)
	v_div_scale_f32 v9, s[2:3], v3, v3, v8
	v_div_scale_f32 v10, vcc, v8, v3, v8
	v_rcp_f32_e32 v11, v9
	v_fma_f32 v12, -v9, v11, 1.0
	v_fmac_f32_e32 v11, v12, v11
	v_mul_f32_e32 v12, v10, v11
	v_fma_f32 v13, -v9, v12, v10
	v_fmac_f32_e32 v12, v13, v11
	v_fma_f32 v9, -v9, v12, v10
	v_div_fmas_f32 v9, v9, v11, v12
	v_div_fixup_f32 v8, v9, v3, v8
	v_rndne_f32_e32 v9, v8
	v_cmp_nle_f32_e32 vcc, s7, v9
	v_bfrev_b32_e32 v8, -2
	s_and_saveexec_b64 s[2:3], vcc
	s_cbranch_execz .LBB7_19
; %bb.21:                               ;   in Loop: Header=BB7_20 Depth=1
	v_cmp_nge_f32_e32 vcc, s8, v9
	v_bfrev_b32_e32 v8, 1
	s_and_saveexec_b64 s[4:5], vcc
	s_cbranch_execz .LBB7_18
; %bb.22:                               ;   in Loop: Header=BB7_20 Depth=1
	v_cvt_i32_f32_e32 v8, v9
	s_branch .LBB7_18
.LBB7_23:
	s_endpgm
	.section	.rodata,"a",@progbits
	.p2align	6, 0x0
	.amdhsa_kernel _Z36dynamic_scaled_int8_azp_quant_kernelI12hip_bfloat16fiEvPKT_PaPT0_PT1_i
		.amdhsa_group_segment_fixed_size 72
		.amdhsa_private_segment_fixed_size 0
		.amdhsa_kernarg_size 296
		.amdhsa_user_sgpr_count 6
		.amdhsa_user_sgpr_private_segment_buffer 1
		.amdhsa_user_sgpr_dispatch_ptr 0
		.amdhsa_user_sgpr_queue_ptr 0
		.amdhsa_user_sgpr_kernarg_segment_ptr 1
		.amdhsa_user_sgpr_dispatch_id 0
		.amdhsa_user_sgpr_flat_scratch_init 0
		.amdhsa_user_sgpr_private_segment_size 0
		.amdhsa_uses_dynamic_stack 0
		.amdhsa_system_sgpr_private_segment_wavefront_offset 0
		.amdhsa_system_sgpr_workgroup_id_x 1
		.amdhsa_system_sgpr_workgroup_id_y 0
		.amdhsa_system_sgpr_workgroup_id_z 0
		.amdhsa_system_sgpr_workgroup_info 0
		.amdhsa_system_vgpr_workitem_id 0
		.amdhsa_next_free_vgpr 20
		.amdhsa_next_free_sgpr 36
		.amdhsa_reserve_vcc 1
		.amdhsa_reserve_flat_scratch 0
		.amdhsa_float_round_mode_32 0
		.amdhsa_float_round_mode_16_64 0
		.amdhsa_float_denorm_mode_32 3
		.amdhsa_float_denorm_mode_16_64 3
		.amdhsa_dx10_clamp 1
		.amdhsa_ieee_mode 1
		.amdhsa_fp16_overflow 0
		.amdhsa_exception_fp_ieee_invalid_op 0
		.amdhsa_exception_fp_denorm_src 0
		.amdhsa_exception_fp_ieee_div_zero 0
		.amdhsa_exception_fp_ieee_overflow 0
		.amdhsa_exception_fp_ieee_underflow 0
		.amdhsa_exception_fp_ieee_inexact 0
		.amdhsa_exception_int_div_zero 0
	.end_amdhsa_kernel
	.section	.text._Z36dynamic_scaled_int8_azp_quant_kernelI12hip_bfloat16fiEvPKT_PaPT0_PT1_i,"axG",@progbits,_Z36dynamic_scaled_int8_azp_quant_kernelI12hip_bfloat16fiEvPKT_PaPT0_PT1_i,comdat
.Lfunc_end7:
	.size	_Z36dynamic_scaled_int8_azp_quant_kernelI12hip_bfloat16fiEvPKT_PaPT0_PT1_i, .Lfunc_end7-_Z36dynamic_scaled_int8_azp_quant_kernelI12hip_bfloat16fiEvPKT_PaPT0_PT1_i
                                        ; -- End function
	.set _Z36dynamic_scaled_int8_azp_quant_kernelI12hip_bfloat16fiEvPKT_PaPT0_PT1_i.num_vgpr, 20
	.set _Z36dynamic_scaled_int8_azp_quant_kernelI12hip_bfloat16fiEvPKT_PaPT0_PT1_i.num_agpr, 0
	.set _Z36dynamic_scaled_int8_azp_quant_kernelI12hip_bfloat16fiEvPKT_PaPT0_PT1_i.numbered_sgpr, 36
	.set _Z36dynamic_scaled_int8_azp_quant_kernelI12hip_bfloat16fiEvPKT_PaPT0_PT1_i.num_named_barrier, 0
	.set _Z36dynamic_scaled_int8_azp_quant_kernelI12hip_bfloat16fiEvPKT_PaPT0_PT1_i.private_seg_size, 0
	.set _Z36dynamic_scaled_int8_azp_quant_kernelI12hip_bfloat16fiEvPKT_PaPT0_PT1_i.uses_vcc, 1
	.set _Z36dynamic_scaled_int8_azp_quant_kernelI12hip_bfloat16fiEvPKT_PaPT0_PT1_i.uses_flat_scratch, 0
	.set _Z36dynamic_scaled_int8_azp_quant_kernelI12hip_bfloat16fiEvPKT_PaPT0_PT1_i.has_dyn_sized_stack, 0
	.set _Z36dynamic_scaled_int8_azp_quant_kernelI12hip_bfloat16fiEvPKT_PaPT0_PT1_i.has_recursion, 0
	.set _Z36dynamic_scaled_int8_azp_quant_kernelI12hip_bfloat16fiEvPKT_PaPT0_PT1_i.has_indirect_call, 0
	.section	.AMDGPU.csdata,"",@progbits
; Kernel info:
; codeLenInByte = 2112
; TotalNumSgprs: 40
; NumVgprs: 20
; ScratchSize: 0
; MemoryBound: 0
; FloatMode: 240
; IeeeMode: 1
; LDSByteSize: 72 bytes/workgroup (compile time only)
; SGPRBlocks: 4
; VGPRBlocks: 4
; NumSGPRsForWavesPerEU: 40
; NumVGPRsForWavesPerEU: 20
; Occupancy: 10
; WaveLimiterHint : 0
; COMPUTE_PGM_RSRC2:SCRATCH_EN: 0
; COMPUTE_PGM_RSRC2:USER_SGPR: 6
; COMPUTE_PGM_RSRC2:TRAP_HANDLER: 0
; COMPUTE_PGM_RSRC2:TGID_X_EN: 1
; COMPUTE_PGM_RSRC2:TGID_Y_EN: 0
; COMPUTE_PGM_RSRC2:TGID_Z_EN: 0
; COMPUTE_PGM_RSRC2:TIDIG_COMP_CNT: 0
	.section	.text._Z31static_scaled_int8_quant_kernelIffEvPKT_PaT0_i,"axG",@progbits,_Z31static_scaled_int8_quant_kernelIffEvPKT_PaT0_i,comdat
	.protected	_Z31static_scaled_int8_quant_kernelIffEvPKT_PaT0_i ; -- Begin function _Z31static_scaled_int8_quant_kernelIffEvPKT_PaT0_i
	.globl	_Z31static_scaled_int8_quant_kernelIffEvPKT_PaT0_i
	.p2align	8
	.type	_Z31static_scaled_int8_quant_kernelIffEvPKT_PaT0_i,@function
_Z31static_scaled_int8_quant_kernelIffEvPKT_PaT0_i: ; @_Z31static_scaled_int8_quant_kernelIffEvPKT_PaT0_i
; %bb.0:
	s_load_dwordx2 s[0:1], s[4:5], 0x10
	s_waitcnt lgkmcnt(0)
	v_cmp_gt_i32_e32 vcc, s1, v0
	s_and_saveexec_b64 s[2:3], vcc
	s_cbranch_execz .LBB8_3
; %bb.1:
	s_load_dwordx4 s[8:11], s[4:5], 0x0
	s_ashr_i32 s2, s1, 31
	s_mul_hi_u32 s3, s1, s6
	s_mul_i32 s2, s2, s6
	s_add_i32 s3, s3, s2
	s_mul_i32 s2, s1, s6
	s_load_dword s6, s[4:5], 0x24
	s_waitcnt lgkmcnt(0)
	s_add_u32 s4, s10, s2
	s_addc_u32 s10, s11, s3
	s_lshl_b64 s[2:3], s[2:3], 2
	s_add_u32 s5, s8, s2
	s_addc_u32 s7, s9, s3
	s_and_b32 s6, s6, 0xffff
	s_mov_b64 s[2:3], 0
	v_mov_b32_e32 v2, s7
	s_mov_b32 s7, 0x42fe0000
	v_mov_b32_e32 v3, 0x42fe0000
	s_mov_b32 s8, 0xc3000000
	v_mov_b32_e32 v4, 0xc3000000
	v_mov_b32_e32 v5, s10
.LBB8_2:                                ; =>This Inner Loop Header: Depth=1
	v_ashrrev_i32_e32 v1, 31, v0
	v_lshlrev_b64 v[6:7], 2, v[0:1]
	v_add_co_u32_e32 v6, vcc, s5, v6
	v_addc_co_u32_e32 v7, vcc, v2, v7, vcc
	global_load_dword v6, v[6:7], off
	s_waitcnt vmcnt(0)
	v_div_scale_f32 v7, s[10:11], s0, s0, v6
	v_div_scale_f32 v8, vcc, v6, s0, v6
	v_rcp_f32_e32 v9, v7
	v_fma_f32 v10, -v7, v9, 1.0
	v_fmac_f32_e32 v9, v10, v9
	v_mul_f32_e32 v10, v8, v9
	v_fma_f32 v11, -v7, v10, v8
	v_fmac_f32_e32 v10, v11, v9
	v_fma_f32 v7, -v7, v10, v8
	v_div_fmas_f32 v7, v7, v9, v10
	v_div_fixup_f32 v6, v7, s0, v6
	v_rndne_f32_e32 v6, v6
	v_cmp_nlt_f32_e32 vcc, s7, v6
	v_cndmask_b32_e32 v7, v3, v6, vcc
	v_cmp_ngt_f32_e32 vcc, s8, v6
	v_cndmask_b32_e32 v6, v4, v7, vcc
	v_cvt_i32_f32_e32 v8, v6
	v_add_co_u32_e32 v6, vcc, s4, v0
	v_addc_co_u32_e32 v7, vcc, v5, v1, vcc
	v_add_u32_e32 v0, s6, v0
	v_cmp_le_i32_e32 vcc, s1, v0
	s_or_b64 s[2:3], vcc, s[2:3]
	global_store_byte v[6:7], v8, off
	s_andn2_b64 exec, exec, s[2:3]
	s_cbranch_execnz .LBB8_2
.LBB8_3:
	s_endpgm
	.section	.rodata,"a",@progbits
	.p2align	6, 0x0
	.amdhsa_kernel _Z31static_scaled_int8_quant_kernelIffEvPKT_PaT0_i
		.amdhsa_group_segment_fixed_size 0
		.amdhsa_private_segment_fixed_size 0
		.amdhsa_kernarg_size 280
		.amdhsa_user_sgpr_count 6
		.amdhsa_user_sgpr_private_segment_buffer 1
		.amdhsa_user_sgpr_dispatch_ptr 0
		.amdhsa_user_sgpr_queue_ptr 0
		.amdhsa_user_sgpr_kernarg_segment_ptr 1
		.amdhsa_user_sgpr_dispatch_id 0
		.amdhsa_user_sgpr_flat_scratch_init 0
		.amdhsa_user_sgpr_private_segment_size 0
		.amdhsa_uses_dynamic_stack 0
		.amdhsa_system_sgpr_private_segment_wavefront_offset 0
		.amdhsa_system_sgpr_workgroup_id_x 1
		.amdhsa_system_sgpr_workgroup_id_y 0
		.amdhsa_system_sgpr_workgroup_id_z 0
		.amdhsa_system_sgpr_workgroup_info 0
		.amdhsa_system_vgpr_workitem_id 0
		.amdhsa_next_free_vgpr 12
		.amdhsa_next_free_sgpr 12
		.amdhsa_reserve_vcc 1
		.amdhsa_reserve_flat_scratch 0
		.amdhsa_float_round_mode_32 0
		.amdhsa_float_round_mode_16_64 0
		.amdhsa_float_denorm_mode_32 3
		.amdhsa_float_denorm_mode_16_64 3
		.amdhsa_dx10_clamp 1
		.amdhsa_ieee_mode 1
		.amdhsa_fp16_overflow 0
		.amdhsa_exception_fp_ieee_invalid_op 0
		.amdhsa_exception_fp_denorm_src 0
		.amdhsa_exception_fp_ieee_div_zero 0
		.amdhsa_exception_fp_ieee_overflow 0
		.amdhsa_exception_fp_ieee_underflow 0
		.amdhsa_exception_fp_ieee_inexact 0
		.amdhsa_exception_int_div_zero 0
	.end_amdhsa_kernel
	.section	.text._Z31static_scaled_int8_quant_kernelIffEvPKT_PaT0_i,"axG",@progbits,_Z31static_scaled_int8_quant_kernelIffEvPKT_PaT0_i,comdat
.Lfunc_end8:
	.size	_Z31static_scaled_int8_quant_kernelIffEvPKT_PaT0_i, .Lfunc_end8-_Z31static_scaled_int8_quant_kernelIffEvPKT_PaT0_i
                                        ; -- End function
	.set _Z31static_scaled_int8_quant_kernelIffEvPKT_PaT0_i.num_vgpr, 12
	.set _Z31static_scaled_int8_quant_kernelIffEvPKT_PaT0_i.num_agpr, 0
	.set _Z31static_scaled_int8_quant_kernelIffEvPKT_PaT0_i.numbered_sgpr, 12
	.set _Z31static_scaled_int8_quant_kernelIffEvPKT_PaT0_i.num_named_barrier, 0
	.set _Z31static_scaled_int8_quant_kernelIffEvPKT_PaT0_i.private_seg_size, 0
	.set _Z31static_scaled_int8_quant_kernelIffEvPKT_PaT0_i.uses_vcc, 1
	.set _Z31static_scaled_int8_quant_kernelIffEvPKT_PaT0_i.uses_flat_scratch, 0
	.set _Z31static_scaled_int8_quant_kernelIffEvPKT_PaT0_i.has_dyn_sized_stack, 0
	.set _Z31static_scaled_int8_quant_kernelIffEvPKT_PaT0_i.has_recursion, 0
	.set _Z31static_scaled_int8_quant_kernelIffEvPKT_PaT0_i.has_indirect_call, 0
	.section	.AMDGPU.csdata,"",@progbits
; Kernel info:
; codeLenInByte = 304
; TotalNumSgprs: 16
; NumVgprs: 12
; ScratchSize: 0
; MemoryBound: 0
; FloatMode: 240
; IeeeMode: 1
; LDSByteSize: 0 bytes/workgroup (compile time only)
; SGPRBlocks: 1
; VGPRBlocks: 2
; NumSGPRsForWavesPerEU: 16
; NumVGPRsForWavesPerEU: 12
; Occupancy: 10
; WaveLimiterHint : 0
; COMPUTE_PGM_RSRC2:SCRATCH_EN: 0
; COMPUTE_PGM_RSRC2:USER_SGPR: 6
; COMPUTE_PGM_RSRC2:TRAP_HANDLER: 0
; COMPUTE_PGM_RSRC2:TGID_X_EN: 1
; COMPUTE_PGM_RSRC2:TGID_Y_EN: 0
; COMPUTE_PGM_RSRC2:TGID_Z_EN: 0
; COMPUTE_PGM_RSRC2:TIDIG_COMP_CNT: 0
	.section	.text._Z35static_scaled_int8_azp_quant_kernelIffiEvPKT_PaT0_T1_i,"axG",@progbits,_Z35static_scaled_int8_azp_quant_kernelIffiEvPKT_PaT0_T1_i,comdat
	.protected	_Z35static_scaled_int8_azp_quant_kernelIffiEvPKT_PaT0_T1_i ; -- Begin function _Z35static_scaled_int8_azp_quant_kernelIffiEvPKT_PaT0_T1_i
	.globl	_Z35static_scaled_int8_azp_quant_kernelIffiEvPKT_PaT0_T1_i
	.p2align	8
	.type	_Z35static_scaled_int8_azp_quant_kernelIffiEvPKT_PaT0_T1_i,@function
_Z35static_scaled_int8_azp_quant_kernelIffiEvPKT_PaT0_T1_i: ; @_Z35static_scaled_int8_azp_quant_kernelIffiEvPKT_PaT0_T1_i
; %bb.0:
	s_load_dwordx4 s[0:3], s[4:5], 0x10
	s_waitcnt lgkmcnt(0)
	v_cmp_gt_i32_e32 vcc, s2, v0
	s_and_saveexec_b64 s[8:9], vcc
	s_cbranch_execz .LBB9_7
; %bb.1:
	s_load_dwordx4 s[8:11], s[4:5], 0x0
	s_load_dword s12, s[4:5], 0x2c
	s_ashr_i32 s3, s2, 31
	s_mul_hi_u32 s7, s2, s6
	s_mul_i32 s3, s3, s6
	s_add_i32 s7, s7, s3
	s_mul_i32 s6, s2, s6
	s_waitcnt lgkmcnt(0)
	s_add_u32 s3, s10, s6
	s_addc_u32 s15, s11, s7
	s_lshl_b64 s[4:5], s[6:7], 2
	s_add_u32 s10, s8, s4
	s_addc_u32 s6, s9, s5
	s_and_b32 s11, s12, 0xffff
	s_mov_b64 s[4:5], 0
	v_mov_b32_e32 v2, s6
	s_mov_b32 s12, 0x4f000000
	s_mov_b32 s13, 0xcf000000
	s_movk_i32 s14, 0xff80
	v_mov_b32_e32 v3, 0x7f
	v_mov_b32_e32 v4, s15
	s_branch .LBB9_4
.LBB9_2:                                ;   in Loop: Header=BB9_4 Depth=1
	s_or_b64 exec, exec, s[8:9]
.LBB9_3:                                ;   in Loop: Header=BB9_4 Depth=1
	s_or_b64 exec, exec, s[6:7]
	v_add_u32_e32 v5, s1, v5
	v_med3_i32 v7, v5, s14, v3
	v_add_co_u32_e32 v5, vcc, s3, v0
	v_addc_co_u32_e32 v6, vcc, v4, v1, vcc
	v_add_u32_e32 v0, s11, v0
	v_cmp_le_i32_e32 vcc, s2, v0
	s_or_b64 s[4:5], vcc, s[4:5]
	global_store_byte v[5:6], v7, off
	s_andn2_b64 exec, exec, s[4:5]
	s_cbranch_execz .LBB9_7
.LBB9_4:                                ; =>This Inner Loop Header: Depth=1
	v_ashrrev_i32_e32 v1, 31, v0
	v_lshlrev_b64 v[5:6], 2, v[0:1]
	v_add_co_u32_e32 v5, vcc, s10, v5
	v_addc_co_u32_e32 v6, vcc, v2, v6, vcc
	global_load_dword v5, v[5:6], off
	s_waitcnt vmcnt(0)
	v_div_scale_f32 v6, s[6:7], s0, s0, v5
	v_div_scale_f32 v7, vcc, v5, s0, v5
	v_rcp_f32_e32 v8, v6
	v_fma_f32 v9, -v6, v8, 1.0
	v_fmac_f32_e32 v8, v9, v8
	v_mul_f32_e32 v9, v7, v8
	v_fma_f32 v10, -v6, v9, v7
	v_fmac_f32_e32 v9, v10, v8
	v_fma_f32 v6, -v6, v9, v7
	v_div_fmas_f32 v6, v6, v8, v9
	v_div_fixup_f32 v5, v6, s0, v5
	v_rndne_f32_e32 v6, v5
	v_cmp_nle_f32_e32 vcc, s12, v6
	v_bfrev_b32_e32 v5, -2
	s_and_saveexec_b64 s[6:7], vcc
	s_cbranch_execz .LBB9_3
; %bb.5:                                ;   in Loop: Header=BB9_4 Depth=1
	v_cmp_nge_f32_e32 vcc, s13, v6
	v_bfrev_b32_e32 v5, 1
	s_and_saveexec_b64 s[8:9], vcc
	s_cbranch_execz .LBB9_2
; %bb.6:                                ;   in Loop: Header=BB9_4 Depth=1
	v_cvt_i32_f32_e32 v5, v6
	s_branch .LBB9_2
.LBB9_7:
	s_endpgm
	.section	.rodata,"a",@progbits
	.p2align	6, 0x0
	.amdhsa_kernel _Z35static_scaled_int8_azp_quant_kernelIffiEvPKT_PaT0_T1_i
		.amdhsa_group_segment_fixed_size 0
		.amdhsa_private_segment_fixed_size 0
		.amdhsa_kernarg_size 288
		.amdhsa_user_sgpr_count 6
		.amdhsa_user_sgpr_private_segment_buffer 1
		.amdhsa_user_sgpr_dispatch_ptr 0
		.amdhsa_user_sgpr_queue_ptr 0
		.amdhsa_user_sgpr_kernarg_segment_ptr 1
		.amdhsa_user_sgpr_dispatch_id 0
		.amdhsa_user_sgpr_flat_scratch_init 0
		.amdhsa_user_sgpr_private_segment_size 0
		.amdhsa_uses_dynamic_stack 0
		.amdhsa_system_sgpr_private_segment_wavefront_offset 0
		.amdhsa_system_sgpr_workgroup_id_x 1
		.amdhsa_system_sgpr_workgroup_id_y 0
		.amdhsa_system_sgpr_workgroup_id_z 0
		.amdhsa_system_sgpr_workgroup_info 0
		.amdhsa_system_vgpr_workitem_id 0
		.amdhsa_next_free_vgpr 11
		.amdhsa_next_free_sgpr 16
		.amdhsa_reserve_vcc 1
		.amdhsa_reserve_flat_scratch 0
		.amdhsa_float_round_mode_32 0
		.amdhsa_float_round_mode_16_64 0
		.amdhsa_float_denorm_mode_32 3
		.amdhsa_float_denorm_mode_16_64 3
		.amdhsa_dx10_clamp 1
		.amdhsa_ieee_mode 1
		.amdhsa_fp16_overflow 0
		.amdhsa_exception_fp_ieee_invalid_op 0
		.amdhsa_exception_fp_denorm_src 0
		.amdhsa_exception_fp_ieee_div_zero 0
		.amdhsa_exception_fp_ieee_overflow 0
		.amdhsa_exception_fp_ieee_underflow 0
		.amdhsa_exception_fp_ieee_inexact 0
		.amdhsa_exception_int_div_zero 0
	.end_amdhsa_kernel
	.section	.text._Z35static_scaled_int8_azp_quant_kernelIffiEvPKT_PaT0_T1_i,"axG",@progbits,_Z35static_scaled_int8_azp_quant_kernelIffiEvPKT_PaT0_T1_i,comdat
.Lfunc_end9:
	.size	_Z35static_scaled_int8_azp_quant_kernelIffiEvPKT_PaT0_T1_i, .Lfunc_end9-_Z35static_scaled_int8_azp_quant_kernelIffiEvPKT_PaT0_T1_i
                                        ; -- End function
	.set _Z35static_scaled_int8_azp_quant_kernelIffiEvPKT_PaT0_T1_i.num_vgpr, 11
	.set _Z35static_scaled_int8_azp_quant_kernelIffiEvPKT_PaT0_T1_i.num_agpr, 0
	.set _Z35static_scaled_int8_azp_quant_kernelIffiEvPKT_PaT0_T1_i.numbered_sgpr, 16
	.set _Z35static_scaled_int8_azp_quant_kernelIffiEvPKT_PaT0_T1_i.num_named_barrier, 0
	.set _Z35static_scaled_int8_azp_quant_kernelIffiEvPKT_PaT0_T1_i.private_seg_size, 0
	.set _Z35static_scaled_int8_azp_quant_kernelIffiEvPKT_PaT0_T1_i.uses_vcc, 1
	.set _Z35static_scaled_int8_azp_quant_kernelIffiEvPKT_PaT0_T1_i.uses_flat_scratch, 0
	.set _Z35static_scaled_int8_azp_quant_kernelIffiEvPKT_PaT0_T1_i.has_dyn_sized_stack, 0
	.set _Z35static_scaled_int8_azp_quant_kernelIffiEvPKT_PaT0_T1_i.has_recursion, 0
	.set _Z35static_scaled_int8_azp_quant_kernelIffiEvPKT_PaT0_T1_i.has_indirect_call, 0
	.section	.AMDGPU.csdata,"",@progbits
; Kernel info:
; codeLenInByte = 344
; TotalNumSgprs: 20
; NumVgprs: 11
; ScratchSize: 0
; MemoryBound: 0
; FloatMode: 240
; IeeeMode: 1
; LDSByteSize: 0 bytes/workgroup (compile time only)
; SGPRBlocks: 2
; VGPRBlocks: 2
; NumSGPRsForWavesPerEU: 20
; NumVGPRsForWavesPerEU: 11
; Occupancy: 10
; WaveLimiterHint : 0
; COMPUTE_PGM_RSRC2:SCRATCH_EN: 0
; COMPUTE_PGM_RSRC2:USER_SGPR: 6
; COMPUTE_PGM_RSRC2:TRAP_HANDLER: 0
; COMPUTE_PGM_RSRC2:TGID_X_EN: 1
; COMPUTE_PGM_RSRC2:TGID_Y_EN: 0
; COMPUTE_PGM_RSRC2:TGID_Z_EN: 0
; COMPUTE_PGM_RSRC2:TIDIG_COMP_CNT: 0
	.section	.text._Z32dynamic_scaled_int8_quant_kernelIffEvPKT_PaPT0_i,"axG",@progbits,_Z32dynamic_scaled_int8_quant_kernelIffEvPKT_PaPT0_i,comdat
	.protected	_Z32dynamic_scaled_int8_quant_kernelIffEvPKT_PaPT0_i ; -- Begin function _Z32dynamic_scaled_int8_quant_kernelIffEvPKT_PaPT0_i
	.globl	_Z32dynamic_scaled_int8_quant_kernelIffEvPKT_PaPT0_i
	.p2align	8
	.type	_Z32dynamic_scaled_int8_quant_kernelIffEvPKT_PaPT0_i,@function
_Z32dynamic_scaled_int8_quant_kernelIffEvPKT_PaPT0_i: ; @_Z32dynamic_scaled_int8_quant_kernelIffEvPKT_PaPT0_i
; %bb.0:
	s_load_dword s16, s[4:5], 0x18
	s_load_dwordx2 s[0:1], s[4:5], 0x0
                                        ; implicit-def: $sgpr14
	s_waitcnt lgkmcnt(0)
	s_ashr_i32 s2, s16, 31
	s_mul_hi_u32 s3, s16, s6
	s_mul_i32 s2, s2, s6
	s_add_i32 s11, s3, s2
	s_mul_i32 s10, s16, s6
	s_lshl_b64 s[2:3], s[10:11], 2
	s_add_u32 s17, s0, s2
	s_addc_u32 s18, s1, s3
	s_add_u32 s8, s4, 32
	v_cmp_gt_i32_e64 s[0:1], s16, v0
	v_cmp_le_i32_e32 vcc, s16, v0
	s_addc_u32 s9, s5, 0
	s_and_saveexec_b64 s[2:3], vcc
	s_xor_b64 s[2:3], exec, s[2:3]
	s_cbranch_execz .LBB10_2
; %bb.1:
	s_load_dword s7, s[8:9], 0xc
	s_waitcnt lgkmcnt(0)
	s_and_b32 s14, s7, 0xffff
.LBB10_2:
	s_or_saveexec_b64 s[2:3], s[2:3]
	s_load_dwordx2 s[12:13], s[4:5], 0x8
	s_mov_b32 s7, 0
	v_mov_b32_e32 v3, 0
	v_mov_b32_e32 v2, s14
	s_xor_b64 exec, exec, s[2:3]
	s_cbranch_execz .LBB10_6
; %bb.3:
	s_load_dword s14, s[8:9], 0xc
	v_mov_b32_e32 v3, 0
	s_mov_b64 s[8:9], 0
	v_mov_b32_e32 v4, s18
	v_mov_b32_e32 v1, v0
	s_waitcnt lgkmcnt(0)
	s_and_b32 s14, s14, 0xffff
.LBB10_4:                               ; =>This Inner Loop Header: Depth=1
	v_ashrrev_i32_e32 v2, 31, v1
	v_lshlrev_b64 v[5:6], 2, v[1:2]
	v_add_u32_e32 v1, s14, v1
	v_add_co_u32_e32 v5, vcc, s17, v5
	v_addc_co_u32_e32 v6, vcc, v4, v6, vcc
	global_load_dword v2, v[5:6], off
	v_cmp_le_i32_e32 vcc, s16, v1
	s_or_b64 s[8:9], vcc, s[8:9]
	s_waitcnt vmcnt(0)
	v_cmp_lt_f32_e32 vcc, 0, v2
	v_cndmask_b32_e64 v2, -v2, v2, vcc
	v_cmp_gt_f32_e32 vcc, v2, v3
	v_cndmask_b32_e32 v3, v3, v2, vcc
	s_andn2_b64 exec, exec, s[8:9]
	s_cbranch_execnz .LBB10_4
; %bb.5:
	s_or_b64 exec, exec, s[8:9]
	v_mov_b32_e32 v2, s14
.LBB10_6:
	s_or_b64 exec, exec, s[2:3]
	v_mbcnt_lo_u32_b32 v1, -1, 0
	v_mbcnt_hi_u32_b32 v1, -1, v1
	v_and_b32_e32 v5, 63, v1
	v_cmp_ne_u32_e32 vcc, 63, v5
	v_addc_co_u32_e32 v4, vcc, 0, v1, vcc
	v_lshlrev_b32_e32 v4, 2, v4
	ds_bpermute_b32 v4, v4, v3
	v_and_b32_e32 v6, 0x3c0, v0
	v_sub_u32_e64 v6, v2, v6 clamp
	v_add_u32_e32 v7, 1, v5
	v_cmp_gt_u32_e64 s[2:3], 62, v5
	s_waitcnt lgkmcnt(0)
	v_cmp_lt_f32_e32 vcc, v3, v4
	v_cndmask_b32_e32 v4, v3, v4, vcc
	v_cmp_lt_u32_e32 vcc, v7, v6
	v_cndmask_b32_e64 v7, 0, 2, s[2:3]
	v_cndmask_b32_e32 v4, v3, v4, vcc
	v_add_lshl_u32 v7, v7, v1, 2
	ds_bpermute_b32 v7, v7, v4
	v_add_u32_e32 v8, 2, v5
	s_waitcnt lgkmcnt(0)
	v_cmp_lt_f32_e64 s[2:3], v4, v7
	v_cndmask_b32_e64 v7, v4, v7, s[2:3]
	v_cmp_lt_u32_e64 s[2:3], v8, v6
	v_cndmask_b32_e64 v4, v4, v7, s[2:3]
	v_cmp_gt_u32_e64 s[2:3], 60, v5
	v_cndmask_b32_e64 v7, 0, 4, s[2:3]
	v_add_lshl_u32 v7, v7, v1, 2
	ds_bpermute_b32 v7, v7, v4
	v_add_u32_e32 v8, 4, v5
	s_waitcnt lgkmcnt(0)
	v_cmp_lt_f32_e64 s[2:3], v4, v7
	v_cndmask_b32_e64 v7, v4, v7, s[2:3]
	v_cmp_lt_u32_e64 s[2:3], v8, v6
	v_cndmask_b32_e64 v4, v4, v7, s[2:3]
	v_cmp_gt_u32_e64 s[2:3], 56, v5
	v_cndmask_b32_e64 v7, 0, 8, s[2:3]
	;; [unrolled: 10-line block ×3, first 2 shown]
	v_add_lshl_u32 v7, v7, v1, 2
	ds_bpermute_b32 v7, v7, v4
	v_add_u32_e32 v8, 16, v5
	v_add_u32_e32 v5, 32, v5
	s_waitcnt lgkmcnt(0)
	v_cmp_lt_f32_e64 s[2:3], v4, v7
	v_cndmask_b32_e64 v7, v4, v7, s[2:3]
	v_cmp_lt_u32_e64 s[2:3], v8, v6
	v_cndmask_b32_e64 v7, v4, v7, s[2:3]
	v_lshlrev_b32_e32 v4, 2, v1
	v_or_b32_e32 v8, 0x80, v4
	ds_bpermute_b32 v8, v8, v7
	v_cmp_lt_u32_e64 s[2:3], v5, v6
	s_waitcnt lgkmcnt(0)
	v_cmp_lt_f32_e64 s[8:9], v7, v8
	s_and_b64 s[2:3], s[2:3], s[8:9]
	v_cndmask_b32_e64 v5, v7, v8, s[2:3]
	v_cndmask_b32_e32 v3, v3, v5, vcc
	v_cmp_eq_u32_e32 vcc, 0, v1
	s_and_saveexec_b64 s[2:3], vcc
; %bb.7:
	v_lshrrev_b32_e32 v5, 4, v0
	v_and_b32_e32 v5, 60, v5
	ds_write_b32 v5, v3
; %bb.8:
	s_or_b64 exec, exec, s[2:3]
	v_cmp_gt_u32_e32 vcc, 16, v0
	s_waitcnt lgkmcnt(0)
	s_barrier
	s_and_saveexec_b64 s[14:15], vcc
	s_cbranch_execz .LBB10_10
; %bb.9:
	ds_read_b32 v3, v4
	v_and_b32_e32 v5, 15, v1
	v_cmp_ne_u32_e32 vcc, 15, v5
	v_addc_co_u32_e32 v6, vcc, 0, v1, vcc
	v_lshlrev_b32_e32 v6, 2, v6
	s_waitcnt lgkmcnt(0)
	ds_bpermute_b32 v6, v6, v3
	v_add_u32_e32 v7, 63, v2
	v_lshrrev_b32_e32 v7, 6, v7
	v_add_u32_e32 v8, 1, v5
	v_cmp_gt_u32_e64 s[2:3], 14, v5
	s_waitcnt lgkmcnt(0)
	v_cmp_lt_f32_e32 vcc, v3, v6
	v_cndmask_b32_e32 v6, v3, v6, vcc
	v_cmp_lt_u32_e32 vcc, v8, v7
	v_cndmask_b32_e64 v8, 0, 2, s[2:3]
	v_cndmask_b32_e32 v6, v3, v6, vcc
	v_add_lshl_u32 v8, v8, v1, 2
	ds_bpermute_b32 v8, v8, v6
	v_add_u32_e32 v9, 2, v5
	v_or_b32_e32 v4, 32, v4
	s_waitcnt lgkmcnt(0)
	v_cmp_lt_f32_e64 s[2:3], v6, v8
	v_cndmask_b32_e64 v8, v6, v8, s[2:3]
	v_cmp_lt_u32_e64 s[2:3], v9, v7
	v_cndmask_b32_e64 v6, v6, v8, s[2:3]
	v_cmp_gt_u32_e64 s[2:3], 12, v5
	v_cndmask_b32_e64 v8, 0, 4, s[2:3]
	v_add_lshl_u32 v1, v8, v1, 2
	ds_bpermute_b32 v1, v1, v6
	v_add_u32_e32 v8, 4, v5
	v_add_u32_e32 v5, 8, v5
	s_waitcnt lgkmcnt(0)
	v_cmp_lt_f32_e64 s[2:3], v6, v1
	v_cndmask_b32_e64 v1, v6, v1, s[2:3]
	v_cmp_lt_u32_e64 s[2:3], v8, v7
	v_cndmask_b32_e64 v1, v6, v1, s[2:3]
	ds_bpermute_b32 v4, v4, v1
	v_cmp_lt_u32_e64 s[2:3], v5, v7
	s_waitcnt lgkmcnt(0)
	v_cmp_lt_f32_e64 s[8:9], v1, v4
	s_and_b64 s[2:3], s[2:3], s[8:9]
	v_cndmask_b32_e64 v1, v1, v4, s[2:3]
	v_cndmask_b32_e32 v3, v3, v1, vcc
.LBB10_10:
	s_or_b64 exec, exec, s[14:15]
	v_cmp_eq_u32_e32 vcc, 0, v0
	s_and_saveexec_b64 s[2:3], vcc
	s_cbranch_execz .LBB10_12
; %bb.11:
	s_mov_b32 s14, 0x42fe0000
	v_div_scale_f32 v1, s[8:9], s14, s14, v3
	v_div_scale_f32 v4, vcc, v3, s14, v3
	s_load_dwordx2 s[4:5], s[4:5], 0x10
	s_lshl_b64 s[6:7], s[6:7], 2
	s_waitcnt lgkmcnt(0)
	s_add_u32 s4, s4, s6
	s_addc_u32 s5, s5, s7
	v_rcp_f32_e32 v5, v1
	v_fma_f32 v6, -v1, v5, 1.0
	v_fmac_f32_e32 v5, v6, v5
	v_mul_f32_e32 v6, v4, v5
	v_fma_f32 v7, -v1, v6, v4
	v_fmac_f32_e32 v6, v7, v5
	v_fma_f32 v1, -v1, v6, v4
	v_div_fmas_f32 v1, v1, v5, v6
	v_mov_b32_e32 v4, 0
	ds_write_b32 v4, v3 offset:64
	v_div_fixup_f32 v1, v1, s14, v3
	global_store_dword v4, v1, s[4:5]
.LBB10_12:
	s_or_b64 exec, exec, s[2:3]
	s_waitcnt vmcnt(0) lgkmcnt(0)
	s_barrier
	s_and_saveexec_b64 s[2:3], s[0:1]
	s_cbranch_execz .LBB10_15
; %bb.13:
	v_mov_b32_e32 v1, 0
	ds_read_b32 v1, v1 offset:64
	s_mov_b32 s2, 0x42fe0000
	s_add_u32 s3, s12, s10
	s_addc_u32 s5, s13, s11
	s_mov_b32 s4, 0xc3000000
	s_waitcnt lgkmcnt(0)
	v_div_scale_f32 v3, s[0:1], v1, v1, s2
	v_div_scale_f32 v4, vcc, s2, v1, s2
	s_mov_b64 s[0:1], 0
	v_rcp_f32_e32 v5, v3
	v_fma_f32 v6, -v3, v5, 1.0
	v_fmac_f32_e32 v5, v6, v5
	v_mul_f32_e32 v6, v4, v5
	v_fma_f32 v7, -v3, v6, v4
	v_fmac_f32_e32 v6, v7, v5
	v_fma_f32 v3, -v3, v6, v4
	v_div_fmas_f32 v6, v3, v5, v6
	v_mov_b32_e32 v3, s18
	v_mov_b32_e32 v4, 0x42fe0000
	;; [unrolled: 1-line block ×4, first 2 shown]
	v_div_fixup_f32 v6, v6, v1, s2
.LBB10_14:                              ; =>This Inner Loop Header: Depth=1
	v_ashrrev_i32_e32 v1, 31, v0
	v_lshlrev_b64 v[8:9], 2, v[0:1]
	v_add_co_u32_e32 v8, vcc, s17, v8
	v_addc_co_u32_e32 v9, vcc, v3, v9, vcc
	global_load_dword v8, v[8:9], off
	s_waitcnt vmcnt(0)
	v_mul_f32_e32 v8, v6, v8
	v_rndne_f32_e32 v8, v8
	v_cmp_nlt_f32_e32 vcc, s2, v8
	v_cndmask_b32_e32 v9, v4, v8, vcc
	v_cmp_ngt_f32_e32 vcc, s4, v8
	v_cndmask_b32_e32 v8, v5, v9, vcc
	v_cvt_i32_f32_e32 v10, v8
	v_add_co_u32_e32 v8, vcc, s3, v0
	v_addc_co_u32_e32 v9, vcc, v7, v1, vcc
	v_add_u32_e32 v0, v0, v2
	v_cmp_le_i32_e32 vcc, s16, v0
	s_or_b64 s[0:1], vcc, s[0:1]
	global_store_byte v[8:9], v10, off
	s_andn2_b64 exec, exec, s[0:1]
	s_cbranch_execnz .LBB10_14
.LBB10_15:
	s_endpgm
	.section	.rodata,"a",@progbits
	.p2align	6, 0x0
	.amdhsa_kernel _Z32dynamic_scaled_int8_quant_kernelIffEvPKT_PaPT0_i
		.amdhsa_group_segment_fixed_size 68
		.amdhsa_private_segment_fixed_size 0
		.amdhsa_kernarg_size 288
		.amdhsa_user_sgpr_count 6
		.amdhsa_user_sgpr_private_segment_buffer 1
		.amdhsa_user_sgpr_dispatch_ptr 0
		.amdhsa_user_sgpr_queue_ptr 0
		.amdhsa_user_sgpr_kernarg_segment_ptr 1
		.amdhsa_user_sgpr_dispatch_id 0
		.amdhsa_user_sgpr_flat_scratch_init 0
		.amdhsa_user_sgpr_private_segment_size 0
		.amdhsa_uses_dynamic_stack 0
		.amdhsa_system_sgpr_private_segment_wavefront_offset 0
		.amdhsa_system_sgpr_workgroup_id_x 1
		.amdhsa_system_sgpr_workgroup_id_y 0
		.amdhsa_system_sgpr_workgroup_id_z 0
		.amdhsa_system_sgpr_workgroup_info 0
		.amdhsa_system_vgpr_workitem_id 0
		.amdhsa_next_free_vgpr 11
		.amdhsa_next_free_sgpr 19
		.amdhsa_reserve_vcc 1
		.amdhsa_reserve_flat_scratch 0
		.amdhsa_float_round_mode_32 0
		.amdhsa_float_round_mode_16_64 0
		.amdhsa_float_denorm_mode_32 3
		.amdhsa_float_denorm_mode_16_64 3
		.amdhsa_dx10_clamp 1
		.amdhsa_ieee_mode 1
		.amdhsa_fp16_overflow 0
		.amdhsa_exception_fp_ieee_invalid_op 0
		.amdhsa_exception_fp_denorm_src 0
		.amdhsa_exception_fp_ieee_div_zero 0
		.amdhsa_exception_fp_ieee_overflow 0
		.amdhsa_exception_fp_ieee_underflow 0
		.amdhsa_exception_fp_ieee_inexact 0
		.amdhsa_exception_int_div_zero 0
	.end_amdhsa_kernel
	.section	.text._Z32dynamic_scaled_int8_quant_kernelIffEvPKT_PaPT0_i,"axG",@progbits,_Z32dynamic_scaled_int8_quant_kernelIffEvPKT_PaPT0_i,comdat
.Lfunc_end10:
	.size	_Z32dynamic_scaled_int8_quant_kernelIffEvPKT_PaPT0_i, .Lfunc_end10-_Z32dynamic_scaled_int8_quant_kernelIffEvPKT_PaPT0_i
                                        ; -- End function
	.set _Z32dynamic_scaled_int8_quant_kernelIffEvPKT_PaPT0_i.num_vgpr, 11
	.set _Z32dynamic_scaled_int8_quant_kernelIffEvPKT_PaPT0_i.num_agpr, 0
	.set _Z32dynamic_scaled_int8_quant_kernelIffEvPKT_PaPT0_i.numbered_sgpr, 19
	.set _Z32dynamic_scaled_int8_quant_kernelIffEvPKT_PaPT0_i.num_named_barrier, 0
	.set _Z32dynamic_scaled_int8_quant_kernelIffEvPKT_PaPT0_i.private_seg_size, 0
	.set _Z32dynamic_scaled_int8_quant_kernelIffEvPKT_PaPT0_i.uses_vcc, 1
	.set _Z32dynamic_scaled_int8_quant_kernelIffEvPKT_PaPT0_i.uses_flat_scratch, 0
	.set _Z32dynamic_scaled_int8_quant_kernelIffEvPKT_PaPT0_i.has_dyn_sized_stack, 0
	.set _Z32dynamic_scaled_int8_quant_kernelIffEvPKT_PaPT0_i.has_recursion, 0
	.set _Z32dynamic_scaled_int8_quant_kernelIffEvPKT_PaPT0_i.has_indirect_call, 0
	.section	.AMDGPU.csdata,"",@progbits
; Kernel info:
; codeLenInByte = 1396
; TotalNumSgprs: 23
; NumVgprs: 11
; ScratchSize: 0
; MemoryBound: 0
; FloatMode: 240
; IeeeMode: 1
; LDSByteSize: 68 bytes/workgroup (compile time only)
; SGPRBlocks: 2
; VGPRBlocks: 2
; NumSGPRsForWavesPerEU: 23
; NumVGPRsForWavesPerEU: 11
; Occupancy: 10
; WaveLimiterHint : 0
; COMPUTE_PGM_RSRC2:SCRATCH_EN: 0
; COMPUTE_PGM_RSRC2:USER_SGPR: 6
; COMPUTE_PGM_RSRC2:TRAP_HANDLER: 0
; COMPUTE_PGM_RSRC2:TGID_X_EN: 1
; COMPUTE_PGM_RSRC2:TGID_Y_EN: 0
; COMPUTE_PGM_RSRC2:TGID_Z_EN: 0
; COMPUTE_PGM_RSRC2:TIDIG_COMP_CNT: 0
	.section	.text._Z36dynamic_scaled_int8_azp_quant_kernelIffiEvPKT_PaPT0_PT1_i,"axG",@progbits,_Z36dynamic_scaled_int8_azp_quant_kernelIffiEvPKT_PaPT0_PT1_i,comdat
	.protected	_Z36dynamic_scaled_int8_azp_quant_kernelIffiEvPKT_PaPT0_PT1_i ; -- Begin function _Z36dynamic_scaled_int8_azp_quant_kernelIffiEvPKT_PaPT0_PT1_i
	.globl	_Z36dynamic_scaled_int8_azp_quant_kernelIffiEvPKT_PaPT0_PT1_i
	.p2align	8
	.type	_Z36dynamic_scaled_int8_azp_quant_kernelIffiEvPKT_PaPT0_PT1_i,@function
_Z36dynamic_scaled_int8_azp_quant_kernelIffiEvPKT_PaPT0_PT1_i: ; @_Z36dynamic_scaled_int8_azp_quant_kernelIffiEvPKT_PaPT0_PT1_i
; %bb.0:
	s_load_dword s33, s[4:5], 0x20
	s_load_dwordx2 s[0:1], s[4:5], 0x0
                                        ; implicit-def: $sgpr10
	s_waitcnt lgkmcnt(0)
	s_ashr_i32 s2, s33, 31
	s_mul_hi_u32 s3, s33, s6
	s_mul_i32 s2, s2, s6
	s_add_i32 s27, s3, s2
	s_mul_i32 s26, s33, s6
	s_lshl_b64 s[2:3], s[26:27], 2
	s_add_u32 s34, s0, s2
	s_addc_u32 s35, s1, s3
	s_add_u32 s8, s4, 40
	v_cmp_gt_i32_e64 s[0:1], s33, v0
	v_cmp_le_i32_e32 vcc, s33, v0
	s_addc_u32 s9, s5, 0
	s_and_saveexec_b64 s[2:3], vcc
	s_xor_b64 s[2:3], exec, s[2:3]
	s_cbranch_execz .LBB11_2
; %bb.1:
	s_load_dword s7, s[8:9], 0xc
	s_waitcnt lgkmcnt(0)
	s_and_b32 s10, s7, 0xffff
.LBB11_2:
	s_or_saveexec_b64 s[2:3], s[2:3]
	s_load_dwordx2 s[28:29], s[4:5], 0x8
	s_mov_b32 s7, 0
	v_mov_b32_e32 v3, 0x7f7fffff
	v_mov_b32_e32 v5, 0x800000
	v_mov_b32_e32 v4, s10
	s_xor_b64 exec, exec, s[2:3]
	s_cbranch_execz .LBB11_6
; %bb.3:
	s_load_dword s10, s[8:9], 0xc
	v_mov_b32_e32 v3, 0x7f7fffff
	v_mov_b32_e32 v5, 0x800000
	s_mov_b64 s[8:9], 0
	v_mov_b32_e32 v4, s35
	s_waitcnt lgkmcnt(0)
	s_and_b32 s10, s10, 0xffff
	v_mov_b32_e32 v1, v0
.LBB11_4:                               ; =>This Inner Loop Header: Depth=1
	v_ashrrev_i32_e32 v2, 31, v1
	v_lshlrev_b64 v[6:7], 2, v[1:2]
	v_add_u32_e32 v1, s10, v1
	v_add_co_u32_e32 v6, vcc, s34, v6
	v_addc_co_u32_e32 v7, vcc, v4, v7, vcc
	global_load_dword v2, v[6:7], off
	v_cmp_le_i32_e32 vcc, s33, v1
	s_or_b64 s[8:9], vcc, s[8:9]
	s_waitcnt vmcnt(0)
	v_cmp_lt_f32_e32 vcc, v5, v2
	v_cndmask_b32_e32 v5, v5, v2, vcc
	v_cmp_lt_f32_e32 vcc, v2, v3
	v_cndmask_b32_e32 v3, v3, v2, vcc
	s_andn2_b64 exec, exec, s[8:9]
	s_cbranch_execnz .LBB11_4
; %bb.5:
	s_or_b64 exec, exec, s[8:9]
	v_mov_b32_e32 v4, s10
.LBB11_6:
	s_or_b64 exec, exec, s[2:3]
	v_mbcnt_lo_u32_b32 v1, -1, 0
	v_mbcnt_hi_u32_b32 v1, -1, v1
	v_and_b32_e32 v2, 63, v1
	v_cmp_ne_u32_e32 vcc, 63, v2
	v_addc_co_u32_e32 v6, vcc, 0, v1, vcc
	v_lshlrev_b32_e32 v6, 2, v6
	ds_bpermute_b32 v7, v6, v5
	v_and_b32_e32 v8, 0x3c0, v0
	v_sub_u32_e64 v12, v4, v8 clamp
	v_add_u32_e32 v8, 1, v2
	v_cmp_gt_u32_e64 s[2:3], 62, v2
	s_waitcnt lgkmcnt(0)
	v_cmp_lt_f32_e32 vcc, v5, v7
	v_cndmask_b32_e32 v7, v5, v7, vcc
	v_cmp_lt_u32_e32 vcc, v8, v12
	v_cndmask_b32_e64 v8, 0, 2, s[2:3]
	v_cndmask_b32_e32 v7, v5, v7, vcc
	v_add_lshl_u32 v9, v8, v1, 2
	ds_bpermute_b32 v8, v9, v7
	v_add_u32_e32 v10, 2, v2
	v_cmp_gt_u32_e64 s[8:9], 60, v2
	v_add_u32_e32 v11, 4, v2
	v_cmp_gt_u32_e64 s[10:11], 56, v2
	s_waitcnt lgkmcnt(0)
	v_cmp_lt_f32_e64 s[2:3], v7, v8
	v_cndmask_b32_e64 v8, v7, v8, s[2:3]
	v_cmp_lt_u32_e64 s[2:3], v10, v12
	v_cndmask_b32_e64 v7, v7, v8, s[2:3]
	v_cndmask_b32_e64 v8, 0, 4, s[8:9]
	v_add_lshl_u32 v10, v8, v1, 2
	ds_bpermute_b32 v8, v10, v7
	v_add_u32_e32 v13, 8, v2
	v_cmp_gt_u32_e64 s[12:13], 48, v2
	v_add_u32_e32 v14, 16, v2
	v_add_u32_e32 v2, 32, v2
	s_waitcnt lgkmcnt(0)
	v_cmp_lt_f32_e64 s[8:9], v7, v8
	v_cndmask_b32_e64 v8, v7, v8, s[8:9]
	v_cmp_lt_u32_e64 s[8:9], v11, v12
	v_cndmask_b32_e64 v7, v7, v8, s[8:9]
	v_cndmask_b32_e64 v8, 0, 8, s[10:11]
	v_add_lshl_u32 v11, v8, v1, 2
	ds_bpermute_b32 v8, v11, v7
	v_cmp_lt_u32_e64 s[14:15], v2, v12
	s_waitcnt lgkmcnt(0)
	v_cmp_lt_f32_e64 s[10:11], v7, v8
	v_cndmask_b32_e64 v8, v7, v8, s[10:11]
	v_cmp_lt_u32_e64 s[10:11], v13, v12
	v_cndmask_b32_e64 v7, v7, v8, s[10:11]
	v_cndmask_b32_e64 v8, 0, 16, s[12:13]
	v_add_lshl_u32 v13, v8, v1, 2
	ds_bpermute_b32 v8, v13, v7
	s_waitcnt lgkmcnt(0)
	v_cmp_lt_f32_e64 s[12:13], v7, v8
	v_cndmask_b32_e64 v8, v7, v8, s[12:13]
	v_cmp_lt_u32_e64 s[12:13], v14, v12
	v_cndmask_b32_e64 v7, v7, v8, s[12:13]
	v_lshlrev_b32_e32 v8, 2, v1
	v_or_b32_e32 v15, 0x80, v8
	ds_bpermute_b32 v14, v15, v7
	s_waitcnt lgkmcnt(0)
	v_cmp_lt_f32_e64 s[16:17], v7, v14
	s_and_b64 s[16:17], s[14:15], s[16:17]
	v_cndmask_b32_e64 v2, v7, v14, s[16:17]
	v_cndmask_b32_e32 v7, v5, v2, vcc
	v_cmp_eq_u32_e64 s[16:17], 0, v1
	v_lshrrev_b32_e32 v14, 4, v0
	s_and_saveexec_b64 s[18:19], s[16:17]
; %bb.7:
	v_and_b32_e32 v2, 60, v14
	ds_write_b32 v2, v7
; %bb.8:
	s_or_b64 exec, exec, s[18:19]
	v_cmp_gt_u32_e64 s[18:19], 16, v0
	v_add_u32_e32 v12, 63, v4
	v_and_b32_e32 v2, 15, v1
	v_or_b32_e32 v5, 32, v8
	s_waitcnt lgkmcnt(0)
	s_barrier
	s_and_saveexec_b64 s[30:31], s[18:19]
	s_cbranch_execz .LBB11_10
; %bb.9:
	ds_read_b32 v7, v8
	v_cmp_ne_u32_e64 s[20:21], 15, v2
	v_addc_co_u32_e64 v16, s[20:21], 0, v1, s[20:21]
	v_lshlrev_b32_e32 v16, 2, v16
	s_waitcnt lgkmcnt(0)
	ds_bpermute_b32 v16, v16, v7
	v_lshrrev_b32_e32 v17, 6, v12
	v_add_u32_e32 v18, 1, v2
	v_cmp_gt_u32_e64 s[22:23], 14, v2
	v_add_u32_e32 v19, 2, v2
	s_waitcnt lgkmcnt(0)
	v_cmp_lt_f32_e64 s[20:21], v7, v16
	v_cndmask_b32_e64 v16, v7, v16, s[20:21]
	v_cmp_lt_u32_e64 s[20:21], v18, v17
	v_cndmask_b32_e64 v18, 0, 2, s[22:23]
	v_cndmask_b32_e64 v16, v7, v16, s[20:21]
	v_add_lshl_u32 v18, v18, v1, 2
	ds_bpermute_b32 v18, v18, v16
	s_waitcnt lgkmcnt(0)
	v_cmp_lt_f32_e64 s[22:23], v16, v18
	v_cndmask_b32_e64 v18, v16, v18, s[22:23]
	v_cmp_lt_u32_e64 s[22:23], v19, v17
	v_cndmask_b32_e64 v16, v16, v18, s[22:23]
	v_cmp_gt_u32_e64 s[22:23], 12, v2
	v_cndmask_b32_e64 v18, 0, 4, s[22:23]
	v_add_lshl_u32 v18, v18, v1, 2
	ds_bpermute_b32 v18, v18, v16
	v_add_u32_e32 v19, 4, v2
	s_waitcnt lgkmcnt(0)
	v_cmp_lt_f32_e64 s[22:23], v16, v18
	v_cndmask_b32_e64 v18, v16, v18, s[22:23]
	v_cmp_lt_u32_e64 s[22:23], v19, v17
	v_cndmask_b32_e64 v16, v16, v18, s[22:23]
	ds_bpermute_b32 v18, v5, v16
	v_add_u32_e32 v19, 8, v2
	v_cmp_lt_u32_e64 s[22:23], v19, v17
	s_waitcnt lgkmcnt(0)
	v_cmp_lt_f32_e64 s[24:25], v16, v18
	s_and_b64 s[22:23], s[22:23], s[24:25]
	v_cndmask_b32_e64 v16, v16, v18, s[22:23]
	v_cndmask_b32_e64 v7, v7, v16, s[20:21]
.LBB11_10:
	s_or_b64 exec, exec, s[30:31]
	ds_bpermute_b32 v6, v6, v3
	s_waitcnt lgkmcnt(0)
	s_barrier
	v_cmp_gt_f32_e64 s[20:21], v3, v6
	v_cndmask_b32_e64 v6, v3, v6, s[20:21]
	v_cndmask_b32_e32 v6, v3, v6, vcc
	ds_bpermute_b32 v9, v9, v6
	s_waitcnt lgkmcnt(0)
	v_cmp_gt_f32_e64 s[20:21], v6, v9
	v_cndmask_b32_e64 v9, v6, v9, s[20:21]
	v_cndmask_b32_e64 v6, v6, v9, s[2:3]
	ds_bpermute_b32 v9, v10, v6
	s_waitcnt lgkmcnt(0)
	v_cmp_gt_f32_e64 s[2:3], v6, v9
	v_cndmask_b32_e64 v9, v6, v9, s[2:3]
	v_cndmask_b32_e64 v6, v6, v9, s[8:9]
	;; [unrolled: 5-line block ×4, first 2 shown]
	ds_bpermute_b32 v9, v15, v6
	s_waitcnt lgkmcnt(0)
	v_cmp_gt_f32_e64 s[2:3], v6, v9
	s_and_b64 s[2:3], s[14:15], s[2:3]
	v_cndmask_b32_e64 v6, v6, v9, s[2:3]
	v_cndmask_b32_e32 v3, v3, v6, vcc
	s_and_saveexec_b64 s[2:3], s[16:17]
; %bb.11:
	v_and_b32_e32 v6, 60, v14
	ds_write_b32 v6, v3
; %bb.12:
	s_or_b64 exec, exec, s[2:3]
	s_waitcnt lgkmcnt(0)
	s_barrier
	s_and_saveexec_b64 s[10:11], s[18:19]
	s_cbranch_execz .LBB11_14
; %bb.13:
	ds_read_b32 v3, v8
	v_cmp_ne_u32_e32 vcc, 15, v2
	v_addc_co_u32_e32 v6, vcc, 0, v1, vcc
	v_lshlrev_b32_e32 v6, 2, v6
	s_waitcnt lgkmcnt(0)
	ds_bpermute_b32 v6, v6, v3
	v_lshrrev_b32_e32 v8, 6, v12
	v_add_u32_e32 v9, 1, v2
	v_cmp_gt_u32_e64 s[2:3], 14, v2
	v_add_u32_e32 v10, 2, v2
	s_waitcnt lgkmcnt(0)
	v_cmp_gt_f32_e32 vcc, v3, v6
	v_cndmask_b32_e32 v6, v3, v6, vcc
	v_cmp_lt_u32_e32 vcc, v9, v8
	v_cndmask_b32_e64 v9, 0, 2, s[2:3]
	v_cndmask_b32_e32 v6, v3, v6, vcc
	v_add_lshl_u32 v9, v9, v1, 2
	ds_bpermute_b32 v9, v9, v6
	s_waitcnt lgkmcnt(0)
	v_cmp_gt_f32_e64 s[2:3], v6, v9
	v_cndmask_b32_e64 v9, v6, v9, s[2:3]
	v_cmp_lt_u32_e64 s[2:3], v10, v8
	v_cndmask_b32_e64 v6, v6, v9, s[2:3]
	v_cmp_gt_u32_e64 s[2:3], 12, v2
	v_cndmask_b32_e64 v9, 0, 4, s[2:3]
	v_add_lshl_u32 v1, v9, v1, 2
	ds_bpermute_b32 v1, v1, v6
	v_add_u32_e32 v9, 4, v2
	v_add_u32_e32 v2, 8, v2
	s_waitcnt lgkmcnt(0)
	v_cmp_gt_f32_e64 s[2:3], v6, v1
	v_cndmask_b32_e64 v1, v6, v1, s[2:3]
	v_cmp_lt_u32_e64 s[2:3], v9, v8
	v_cndmask_b32_e64 v1, v6, v1, s[2:3]
	ds_bpermute_b32 v5, v5, v1
	v_cmp_lt_u32_e64 s[2:3], v2, v8
	s_waitcnt lgkmcnt(0)
	v_cmp_gt_f32_e64 s[8:9], v1, v5
	s_and_b64 s[2:3], s[2:3], s[8:9]
	v_cndmask_b32_e64 v1, v1, v5, s[2:3]
	v_cndmask_b32_e32 v3, v3, v1, vcc
.LBB11_14:
	s_or_b64 exec, exec, s[10:11]
	v_cmp_eq_u32_e32 vcc, 0, v0
	s_and_saveexec_b64 s[2:3], vcc
	s_cbranch_execz .LBB11_16
; %bb.15:
	v_sub_f32_e32 v1, v7, v3
	s_mov_b32 s10, 0x437f0000
	v_div_scale_f32 v2, s[8:9], s10, s10, v1
	v_div_scale_f32 v5, vcc, v1, s10, v1
	v_rcp_f32_e32 v6, v2
	v_fma_f32 v7, -v2, v6, 1.0
	v_fmac_f32_e32 v6, v7, v6
	v_mul_f32_e32 v7, v5, v6
	v_fma_f32 v8, -v2, v7, v5
	v_fmac_f32_e32 v7, v8, v6
	v_fma_f32 v2, -v2, v7, v5
	v_div_fmas_f32 v2, v2, v6, v7
	v_div_fixup_f32 v2, v2, s10, v1
	v_div_scale_f32 v1, s[8:9], v2, v2, v3
	v_div_scale_f32 v5, vcc, v3, v2, v3
	s_load_dwordx4 s[8:11], s[4:5], 0x10
	s_lshl_b64 s[4:5], s[6:7], 2
	s_waitcnt lgkmcnt(0)
	s_add_u32 s6, s8, s4
	s_addc_u32 s7, s9, s5
	s_add_u32 s4, s10, s4
	s_addc_u32 s5, s11, s5
	v_rcp_f32_e32 v6, v1
	v_fma_f32 v7, -v1, v6, 1.0
	v_fmac_f32_e32 v6, v7, v6
	v_mul_f32_e32 v7, v5, v6
	v_fma_f32 v8, -v1, v7, v5
	v_fmac_f32_e32 v7, v8, v6
	v_fma_f32 v1, -v1, v7, v5
	v_div_fmas_f32 v1, v1, v6, v7
	v_mov_b32_e32 v5, 0
	global_store_dword v5, v2, s[6:7]
	v_div_fixup_f32 v1, v1, v2, v3
	v_sub_f32_e32 v1, 0xc3000000, v1
	v_rndne_f32_e32 v1, v1
	v_cvt_i32_f32_e32 v1, v1
	ds_write_b64 v5, v[1:2] offset:64
	global_store_dword v5, v1, s[4:5]
.LBB11_16:
	s_or_b64 exec, exec, s[2:3]
	s_waitcnt vmcnt(0) lgkmcnt(0)
	s_barrier
	s_and_saveexec_b64 s[2:3], s[0:1]
	s_cbranch_execz .LBB11_23
; %bb.17:
	v_mov_b32_e32 v1, 0
	ds_read_b64 v[2:3], v1 offset:64
	s_add_u32 s6, s28, s26
	s_addc_u32 s2, s29, s27
	s_mov_b64 s[0:1], 0
	v_mov_b32_e32 v5, s35
	s_mov_b32 s7, 0x4f000000
	s_mov_b32 s8, 0xcf000000
	s_movk_i32 s9, 0xff80
	v_mov_b32_e32 v6, 0x7f
	v_mov_b32_e32 v7, s2
	s_branch .LBB11_20
.LBB11_18:                              ;   in Loop: Header=BB11_20 Depth=1
	s_or_b64 exec, exec, s[4:5]
.LBB11_19:                              ;   in Loop: Header=BB11_20 Depth=1
	s_or_b64 exec, exec, s[2:3]
	v_add_u32_e32 v8, v8, v2
	v_med3_i32 v10, v8, s9, v6
	v_add_co_u32_e32 v8, vcc, s6, v0
	v_addc_co_u32_e32 v9, vcc, v7, v1, vcc
	v_add_u32_e32 v0, v0, v4
	v_cmp_le_i32_e32 vcc, s33, v0
	s_or_b64 s[0:1], vcc, s[0:1]
	global_store_byte v[8:9], v10, off
	s_andn2_b64 exec, exec, s[0:1]
	s_cbranch_execz .LBB11_23
.LBB11_20:                              ; =>This Inner Loop Header: Depth=1
	v_ashrrev_i32_e32 v1, 31, v0
	v_lshlrev_b64 v[8:9], 2, v[0:1]
	v_add_co_u32_e32 v8, vcc, s34, v8
	v_addc_co_u32_e32 v9, vcc, v5, v9, vcc
	global_load_dword v8, v[8:9], off
	s_waitcnt vmcnt(0) lgkmcnt(0)
	v_div_scale_f32 v9, s[2:3], v3, v3, v8
	v_div_scale_f32 v10, vcc, v8, v3, v8
	v_rcp_f32_e32 v11, v9
	v_fma_f32 v12, -v9, v11, 1.0
	v_fmac_f32_e32 v11, v12, v11
	v_mul_f32_e32 v12, v10, v11
	v_fma_f32 v13, -v9, v12, v10
	v_fmac_f32_e32 v12, v13, v11
	v_fma_f32 v9, -v9, v12, v10
	v_div_fmas_f32 v9, v9, v11, v12
	v_div_fixup_f32 v8, v9, v3, v8
	v_rndne_f32_e32 v9, v8
	v_cmp_nle_f32_e32 vcc, s7, v9
	v_bfrev_b32_e32 v8, -2
	s_and_saveexec_b64 s[2:3], vcc
	s_cbranch_execz .LBB11_19
; %bb.21:                               ;   in Loop: Header=BB11_20 Depth=1
	v_cmp_nge_f32_e32 vcc, s8, v9
	v_bfrev_b32_e32 v8, 1
	s_and_saveexec_b64 s[4:5], vcc
	s_cbranch_execz .LBB11_18
; %bb.22:                               ;   in Loop: Header=BB11_20 Depth=1
	v_cvt_i32_f32_e32 v8, v9
	s_branch .LBB11_18
.LBB11_23:
	s_endpgm
	.section	.rodata,"a",@progbits
	.p2align	6, 0x0
	.amdhsa_kernel _Z36dynamic_scaled_int8_azp_quant_kernelIffiEvPKT_PaPT0_PT1_i
		.amdhsa_group_segment_fixed_size 72
		.amdhsa_private_segment_fixed_size 0
		.amdhsa_kernarg_size 296
		.amdhsa_user_sgpr_count 6
		.amdhsa_user_sgpr_private_segment_buffer 1
		.amdhsa_user_sgpr_dispatch_ptr 0
		.amdhsa_user_sgpr_queue_ptr 0
		.amdhsa_user_sgpr_kernarg_segment_ptr 1
		.amdhsa_user_sgpr_dispatch_id 0
		.amdhsa_user_sgpr_flat_scratch_init 0
		.amdhsa_user_sgpr_private_segment_size 0
		.amdhsa_uses_dynamic_stack 0
		.amdhsa_system_sgpr_private_segment_wavefront_offset 0
		.amdhsa_system_sgpr_workgroup_id_x 1
		.amdhsa_system_sgpr_workgroup_id_y 0
		.amdhsa_system_sgpr_workgroup_id_z 0
		.amdhsa_system_sgpr_workgroup_info 0
		.amdhsa_system_vgpr_workitem_id 0
		.amdhsa_next_free_vgpr 20
		.amdhsa_next_free_sgpr 36
		.amdhsa_reserve_vcc 1
		.amdhsa_reserve_flat_scratch 0
		.amdhsa_float_round_mode_32 0
		.amdhsa_float_round_mode_16_64 0
		.amdhsa_float_denorm_mode_32 3
		.amdhsa_float_denorm_mode_16_64 3
		.amdhsa_dx10_clamp 1
		.amdhsa_ieee_mode 1
		.amdhsa_fp16_overflow 0
		.amdhsa_exception_fp_ieee_invalid_op 0
		.amdhsa_exception_fp_denorm_src 0
		.amdhsa_exception_fp_ieee_div_zero 0
		.amdhsa_exception_fp_ieee_overflow 0
		.amdhsa_exception_fp_ieee_underflow 0
		.amdhsa_exception_fp_ieee_inexact 0
		.amdhsa_exception_int_div_zero 0
	.end_amdhsa_kernel
	.section	.text._Z36dynamic_scaled_int8_azp_quant_kernelIffiEvPKT_PaPT0_PT1_i,"axG",@progbits,_Z36dynamic_scaled_int8_azp_quant_kernelIffiEvPKT_PaPT0_PT1_i,comdat
.Lfunc_end11:
	.size	_Z36dynamic_scaled_int8_azp_quant_kernelIffiEvPKT_PaPT0_PT1_i, .Lfunc_end11-_Z36dynamic_scaled_int8_azp_quant_kernelIffiEvPKT_PaPT0_PT1_i
                                        ; -- End function
	.set _Z36dynamic_scaled_int8_azp_quant_kernelIffiEvPKT_PaPT0_PT1_i.num_vgpr, 20
	.set _Z36dynamic_scaled_int8_azp_quant_kernelIffiEvPKT_PaPT0_PT1_i.num_agpr, 0
	.set _Z36dynamic_scaled_int8_azp_quant_kernelIffiEvPKT_PaPT0_PT1_i.numbered_sgpr, 36
	.set _Z36dynamic_scaled_int8_azp_quant_kernelIffiEvPKT_PaPT0_PT1_i.num_named_barrier, 0
	.set _Z36dynamic_scaled_int8_azp_quant_kernelIffiEvPKT_PaPT0_PT1_i.private_seg_size, 0
	.set _Z36dynamic_scaled_int8_azp_quant_kernelIffiEvPKT_PaPT0_PT1_i.uses_vcc, 1
	.set _Z36dynamic_scaled_int8_azp_quant_kernelIffiEvPKT_PaPT0_PT1_i.uses_flat_scratch, 0
	.set _Z36dynamic_scaled_int8_azp_quant_kernelIffiEvPKT_PaPT0_PT1_i.has_dyn_sized_stack, 0
	.set _Z36dynamic_scaled_int8_azp_quant_kernelIffiEvPKT_PaPT0_PT1_i.has_recursion, 0
	.set _Z36dynamic_scaled_int8_azp_quant_kernelIffiEvPKT_PaPT0_PT1_i.has_indirect_call, 0
	.section	.AMDGPU.csdata,"",@progbits
; Kernel info:
; codeLenInByte = 2100
; TotalNumSgprs: 40
; NumVgprs: 20
; ScratchSize: 0
; MemoryBound: 0
; FloatMode: 240
; IeeeMode: 1
; LDSByteSize: 72 bytes/workgroup (compile time only)
; SGPRBlocks: 4
; VGPRBlocks: 4
; NumSGPRsForWavesPerEU: 40
; NumVGPRsForWavesPerEU: 20
; Occupancy: 10
; WaveLimiterHint : 0
; COMPUTE_PGM_RSRC2:SCRATCH_EN: 0
; COMPUTE_PGM_RSRC2:USER_SGPR: 6
; COMPUTE_PGM_RSRC2:TRAP_HANDLER: 0
; COMPUTE_PGM_RSRC2:TGID_X_EN: 1
; COMPUTE_PGM_RSRC2:TGID_Y_EN: 0
; COMPUTE_PGM_RSRC2:TGID_Z_EN: 0
; COMPUTE_PGM_RSRC2:TIDIG_COMP_CNT: 0
	.section	.AMDGPU.gpr_maximums,"",@progbits
	.set amdgpu.max_num_vgpr, 0
	.set amdgpu.max_num_agpr, 0
	.set amdgpu.max_num_sgpr, 0
	.section	.AMDGPU.csdata,"",@progbits
	.type	__hip_cuid_179db256ee5b353b,@object ; @__hip_cuid_179db256ee5b353b
	.section	.bss,"aw",@nobits
	.globl	__hip_cuid_179db256ee5b353b
__hip_cuid_179db256ee5b353b:
	.byte	0                               ; 0x0
	.size	__hip_cuid_179db256ee5b353b, 1

	.ident	"AMD clang version 22.0.0git (https://github.com/RadeonOpenCompute/llvm-project roc-7.2.4 26084 f58b06dce1f9c15707c5f808fd002e18c2accf7e)"
	.section	".note.GNU-stack","",@progbits
	.addrsig
	.addrsig_sym __hip_cuid_179db256ee5b353b
	.amdgpu_metadata
---
amdhsa.kernels:
  - .args:
      - .actual_access:  read_only
        .address_space:  global
        .offset:         0
        .size:           8
        .value_kind:     global_buffer
      - .actual_access:  write_only
        .address_space:  global
        .offset:         8
        .size:           8
        .value_kind:     global_buffer
      - .offset:         16
        .size:           4
        .value_kind:     by_value
      - .offset:         20
        .size:           4
        .value_kind:     by_value
      - .offset:         24
        .size:           4
        .value_kind:     hidden_block_count_x
      - .offset:         28
        .size:           4
        .value_kind:     hidden_block_count_y
      - .offset:         32
        .size:           4
        .value_kind:     hidden_block_count_z
      - .offset:         36
        .size:           2
        .value_kind:     hidden_group_size_x
      - .offset:         38
        .size:           2
        .value_kind:     hidden_group_size_y
      - .offset:         40
        .size:           2
        .value_kind:     hidden_group_size_z
      - .offset:         42
        .size:           2
        .value_kind:     hidden_remainder_x
      - .offset:         44
        .size:           2
        .value_kind:     hidden_remainder_y
      - .offset:         46
        .size:           2
        .value_kind:     hidden_remainder_z
      - .offset:         64
        .size:           8
        .value_kind:     hidden_global_offset_x
      - .offset:         72
        .size:           8
        .value_kind:     hidden_global_offset_y
      - .offset:         80
        .size:           8
        .value_kind:     hidden_global_offset_z
      - .offset:         88
        .size:           2
        .value_kind:     hidden_grid_dims
    .group_segment_fixed_size: 0
    .kernarg_segment_align: 8
    .kernarg_segment_size: 280
    .language:       OpenCL C
    .language_version:
      - 2
      - 0
    .max_flat_workgroup_size: 1024
    .name:           _Z31static_scaled_int8_quant_kernelI6__halffEvPKT_PaT0_i
    .private_segment_fixed_size: 0
    .sgpr_count:     16
    .sgpr_spill_count: 0
    .symbol:         _Z31static_scaled_int8_quant_kernelI6__halffEvPKT_PaT0_i.kd
    .uniform_work_group_size: 1
    .uses_dynamic_stack: false
    .vgpr_count:     12
    .vgpr_spill_count: 0
    .wavefront_size: 64
  - .args:
      - .actual_access:  read_only
        .address_space:  global
        .offset:         0
        .size:           8
        .value_kind:     global_buffer
      - .actual_access:  write_only
        .address_space:  global
        .offset:         8
        .size:           8
        .value_kind:     global_buffer
      - .offset:         16
        .size:           4
        .value_kind:     by_value
      - .offset:         20
        .size:           4
        .value_kind:     by_value
      - .offset:         24
        .size:           4
        .value_kind:     by_value
      - .offset:         32
        .size:           4
        .value_kind:     hidden_block_count_x
      - .offset:         36
        .size:           4
        .value_kind:     hidden_block_count_y
      - .offset:         40
        .size:           4
        .value_kind:     hidden_block_count_z
      - .offset:         44
        .size:           2
        .value_kind:     hidden_group_size_x
      - .offset:         46
        .size:           2
        .value_kind:     hidden_group_size_y
      - .offset:         48
        .size:           2
        .value_kind:     hidden_group_size_z
      - .offset:         50
        .size:           2
        .value_kind:     hidden_remainder_x
      - .offset:         52
        .size:           2
        .value_kind:     hidden_remainder_y
      - .offset:         54
        .size:           2
        .value_kind:     hidden_remainder_z
      - .offset:         72
        .size:           8
        .value_kind:     hidden_global_offset_x
      - .offset:         80
        .size:           8
        .value_kind:     hidden_global_offset_y
      - .offset:         88
        .size:           8
        .value_kind:     hidden_global_offset_z
      - .offset:         96
        .size:           2
        .value_kind:     hidden_grid_dims
    .group_segment_fixed_size: 0
    .kernarg_segment_align: 8
    .kernarg_segment_size: 288
    .language:       OpenCL C
    .language_version:
      - 2
      - 0
    .max_flat_workgroup_size: 1024
    .name:           _Z35static_scaled_int8_azp_quant_kernelI6__halffiEvPKT_PaT0_T1_i
    .private_segment_fixed_size: 0
    .sgpr_count:     20
    .sgpr_spill_count: 0
    .symbol:         _Z35static_scaled_int8_azp_quant_kernelI6__halffiEvPKT_PaT0_T1_i.kd
    .uniform_work_group_size: 1
    .uses_dynamic_stack: false
    .vgpr_count:     11
    .vgpr_spill_count: 0
    .wavefront_size: 64
  - .args:
      - .actual_access:  read_only
        .address_space:  global
        .offset:         0
        .size:           8
        .value_kind:     global_buffer
      - .actual_access:  write_only
        .address_space:  global
        .offset:         8
        .size:           8
        .value_kind:     global_buffer
      - .address_space:  global
        .offset:         16
        .size:           8
        .value_kind:     global_buffer
      - .offset:         24
        .size:           4
        .value_kind:     by_value
      - .offset:         32
        .size:           4
        .value_kind:     hidden_block_count_x
      - .offset:         36
        .size:           4
        .value_kind:     hidden_block_count_y
      - .offset:         40
        .size:           4
        .value_kind:     hidden_block_count_z
      - .offset:         44
        .size:           2
        .value_kind:     hidden_group_size_x
      - .offset:         46
        .size:           2
        .value_kind:     hidden_group_size_y
      - .offset:         48
        .size:           2
        .value_kind:     hidden_group_size_z
      - .offset:         50
        .size:           2
        .value_kind:     hidden_remainder_x
      - .offset:         52
        .size:           2
        .value_kind:     hidden_remainder_y
      - .offset:         54
        .size:           2
        .value_kind:     hidden_remainder_z
      - .offset:         72
        .size:           8
        .value_kind:     hidden_global_offset_x
      - .offset:         80
        .size:           8
        .value_kind:     hidden_global_offset_y
      - .offset:         88
        .size:           8
        .value_kind:     hidden_global_offset_z
      - .offset:         96
        .size:           2
        .value_kind:     hidden_grid_dims
    .group_segment_fixed_size: 68
    .kernarg_segment_align: 8
    .kernarg_segment_size: 288
    .language:       OpenCL C
    .language_version:
      - 2
      - 0
    .max_flat_workgroup_size: 1024
    .name:           _Z32dynamic_scaled_int8_quant_kernelI6__halffEvPKT_PaPT0_i
    .private_segment_fixed_size: 0
    .sgpr_count:     23
    .sgpr_spill_count: 0
    .symbol:         _Z32dynamic_scaled_int8_quant_kernelI6__halffEvPKT_PaPT0_i.kd
    .uniform_work_group_size: 1
    .uses_dynamic_stack: false
    .vgpr_count:     11
    .vgpr_spill_count: 0
    .wavefront_size: 64
  - .args:
      - .actual_access:  read_only
        .address_space:  global
        .offset:         0
        .size:           8
        .value_kind:     global_buffer
      - .actual_access:  write_only
        .address_space:  global
        .offset:         8
        .size:           8
        .value_kind:     global_buffer
      - .address_space:  global
        .offset:         16
        .size:           8
        .value_kind:     global_buffer
      - .address_space:  global
        .offset:         24
        .size:           8
        .value_kind:     global_buffer
      - .offset:         32
        .size:           4
        .value_kind:     by_value
      - .offset:         40
        .size:           4
        .value_kind:     hidden_block_count_x
      - .offset:         44
        .size:           4
        .value_kind:     hidden_block_count_y
      - .offset:         48
        .size:           4
        .value_kind:     hidden_block_count_z
      - .offset:         52
        .size:           2
        .value_kind:     hidden_group_size_x
      - .offset:         54
        .size:           2
        .value_kind:     hidden_group_size_y
      - .offset:         56
        .size:           2
        .value_kind:     hidden_group_size_z
      - .offset:         58
        .size:           2
        .value_kind:     hidden_remainder_x
      - .offset:         60
        .size:           2
        .value_kind:     hidden_remainder_y
      - .offset:         62
        .size:           2
        .value_kind:     hidden_remainder_z
      - .offset:         80
        .size:           8
        .value_kind:     hidden_global_offset_x
      - .offset:         88
        .size:           8
        .value_kind:     hidden_global_offset_y
      - .offset:         96
        .size:           8
        .value_kind:     hidden_global_offset_z
      - .offset:         104
        .size:           2
        .value_kind:     hidden_grid_dims
    .group_segment_fixed_size: 72
    .kernarg_segment_align: 8
    .kernarg_segment_size: 296
    .language:       OpenCL C
    .language_version:
      - 2
      - 0
    .max_flat_workgroup_size: 1024
    .name:           _Z36dynamic_scaled_int8_azp_quant_kernelI6__halffiEvPKT_PaPT0_PT1_i
    .private_segment_fixed_size: 0
    .sgpr_count:     40
    .sgpr_spill_count: 0
    .symbol:         _Z36dynamic_scaled_int8_azp_quant_kernelI6__halffiEvPKT_PaPT0_PT1_i.kd
    .uniform_work_group_size: 1
    .uses_dynamic_stack: false
    .vgpr_count:     20
    .vgpr_spill_count: 0
    .wavefront_size: 64
  - .args:
      - .actual_access:  read_only
        .address_space:  global
        .offset:         0
        .size:           8
        .value_kind:     global_buffer
      - .actual_access:  write_only
        .address_space:  global
        .offset:         8
        .size:           8
        .value_kind:     global_buffer
      - .offset:         16
        .size:           4
        .value_kind:     by_value
      - .offset:         20
        .size:           4
        .value_kind:     by_value
      - .offset:         24
        .size:           4
        .value_kind:     hidden_block_count_x
      - .offset:         28
        .size:           4
        .value_kind:     hidden_block_count_y
      - .offset:         32
        .size:           4
        .value_kind:     hidden_block_count_z
      - .offset:         36
        .size:           2
        .value_kind:     hidden_group_size_x
      - .offset:         38
        .size:           2
        .value_kind:     hidden_group_size_y
      - .offset:         40
        .size:           2
        .value_kind:     hidden_group_size_z
      - .offset:         42
        .size:           2
        .value_kind:     hidden_remainder_x
      - .offset:         44
        .size:           2
        .value_kind:     hidden_remainder_y
      - .offset:         46
        .size:           2
        .value_kind:     hidden_remainder_z
      - .offset:         64
        .size:           8
        .value_kind:     hidden_global_offset_x
      - .offset:         72
        .size:           8
        .value_kind:     hidden_global_offset_y
      - .offset:         80
        .size:           8
        .value_kind:     hidden_global_offset_z
      - .offset:         88
        .size:           2
        .value_kind:     hidden_grid_dims
    .group_segment_fixed_size: 0
    .kernarg_segment_align: 8
    .kernarg_segment_size: 280
    .language:       OpenCL C
    .language_version:
      - 2
      - 0
    .max_flat_workgroup_size: 1024
    .name:           _Z31static_scaled_int8_quant_kernelI12hip_bfloat16fEvPKT_PaT0_i
    .private_segment_fixed_size: 0
    .sgpr_count:     16
    .sgpr_spill_count: 0
    .symbol:         _Z31static_scaled_int8_quant_kernelI12hip_bfloat16fEvPKT_PaT0_i.kd
    .uniform_work_group_size: 1
    .uses_dynamic_stack: false
    .vgpr_count:     12
    .vgpr_spill_count: 0
    .wavefront_size: 64
  - .args:
      - .actual_access:  read_only
        .address_space:  global
        .offset:         0
        .size:           8
        .value_kind:     global_buffer
      - .actual_access:  write_only
        .address_space:  global
        .offset:         8
        .size:           8
        .value_kind:     global_buffer
      - .offset:         16
        .size:           4
        .value_kind:     by_value
      - .offset:         20
        .size:           4
        .value_kind:     by_value
      - .offset:         24
        .size:           4
        .value_kind:     by_value
      - .offset:         32
        .size:           4
        .value_kind:     hidden_block_count_x
      - .offset:         36
        .size:           4
        .value_kind:     hidden_block_count_y
      - .offset:         40
        .size:           4
        .value_kind:     hidden_block_count_z
      - .offset:         44
        .size:           2
        .value_kind:     hidden_group_size_x
      - .offset:         46
        .size:           2
        .value_kind:     hidden_group_size_y
      - .offset:         48
        .size:           2
        .value_kind:     hidden_group_size_z
      - .offset:         50
        .size:           2
        .value_kind:     hidden_remainder_x
      - .offset:         52
        .size:           2
        .value_kind:     hidden_remainder_y
      - .offset:         54
        .size:           2
        .value_kind:     hidden_remainder_z
      - .offset:         72
        .size:           8
        .value_kind:     hidden_global_offset_x
      - .offset:         80
        .size:           8
        .value_kind:     hidden_global_offset_y
      - .offset:         88
        .size:           8
        .value_kind:     hidden_global_offset_z
      - .offset:         96
        .size:           2
        .value_kind:     hidden_grid_dims
    .group_segment_fixed_size: 0
    .kernarg_segment_align: 8
    .kernarg_segment_size: 288
    .language:       OpenCL C
    .language_version:
      - 2
      - 0
    .max_flat_workgroup_size: 1024
    .name:           _Z35static_scaled_int8_azp_quant_kernelI12hip_bfloat16fiEvPKT_PaT0_T1_i
    .private_segment_fixed_size: 0
    .sgpr_count:     20
    .sgpr_spill_count: 0
    .symbol:         _Z35static_scaled_int8_azp_quant_kernelI12hip_bfloat16fiEvPKT_PaT0_T1_i.kd
    .uniform_work_group_size: 1
    .uses_dynamic_stack: false
    .vgpr_count:     11
    .vgpr_spill_count: 0
    .wavefront_size: 64
  - .args:
      - .actual_access:  read_only
        .address_space:  global
        .offset:         0
        .size:           8
        .value_kind:     global_buffer
      - .actual_access:  write_only
        .address_space:  global
        .offset:         8
        .size:           8
        .value_kind:     global_buffer
      - .address_space:  global
        .offset:         16
        .size:           8
        .value_kind:     global_buffer
      - .offset:         24
        .size:           4
        .value_kind:     by_value
      - .offset:         32
        .size:           4
        .value_kind:     hidden_block_count_x
      - .offset:         36
        .size:           4
        .value_kind:     hidden_block_count_y
      - .offset:         40
        .size:           4
        .value_kind:     hidden_block_count_z
      - .offset:         44
        .size:           2
        .value_kind:     hidden_group_size_x
      - .offset:         46
        .size:           2
        .value_kind:     hidden_group_size_y
      - .offset:         48
        .size:           2
        .value_kind:     hidden_group_size_z
      - .offset:         50
        .size:           2
        .value_kind:     hidden_remainder_x
      - .offset:         52
        .size:           2
        .value_kind:     hidden_remainder_y
      - .offset:         54
        .size:           2
        .value_kind:     hidden_remainder_z
      - .offset:         72
        .size:           8
        .value_kind:     hidden_global_offset_x
      - .offset:         80
        .size:           8
        .value_kind:     hidden_global_offset_y
      - .offset:         88
        .size:           8
        .value_kind:     hidden_global_offset_z
      - .offset:         96
        .size:           2
        .value_kind:     hidden_grid_dims
    .group_segment_fixed_size: 68
    .kernarg_segment_align: 8
    .kernarg_segment_size: 288
    .language:       OpenCL C
    .language_version:
      - 2
      - 0
    .max_flat_workgroup_size: 1024
    .name:           _Z32dynamic_scaled_int8_quant_kernelI12hip_bfloat16fEvPKT_PaPT0_i
    .private_segment_fixed_size: 0
    .sgpr_count:     23
    .sgpr_spill_count: 0
    .symbol:         _Z32dynamic_scaled_int8_quant_kernelI12hip_bfloat16fEvPKT_PaPT0_i.kd
    .uniform_work_group_size: 1
    .uses_dynamic_stack: false
    .vgpr_count:     11
    .vgpr_spill_count: 0
    .wavefront_size: 64
  - .args:
      - .actual_access:  read_only
        .address_space:  global
        .offset:         0
        .size:           8
        .value_kind:     global_buffer
      - .actual_access:  write_only
        .address_space:  global
        .offset:         8
        .size:           8
        .value_kind:     global_buffer
      - .address_space:  global
        .offset:         16
        .size:           8
        .value_kind:     global_buffer
      - .address_space:  global
        .offset:         24
        .size:           8
        .value_kind:     global_buffer
      - .offset:         32
        .size:           4
        .value_kind:     by_value
      - .offset:         40
        .size:           4
        .value_kind:     hidden_block_count_x
      - .offset:         44
        .size:           4
        .value_kind:     hidden_block_count_y
      - .offset:         48
        .size:           4
        .value_kind:     hidden_block_count_z
      - .offset:         52
        .size:           2
        .value_kind:     hidden_group_size_x
      - .offset:         54
        .size:           2
        .value_kind:     hidden_group_size_y
      - .offset:         56
        .size:           2
        .value_kind:     hidden_group_size_z
      - .offset:         58
        .size:           2
        .value_kind:     hidden_remainder_x
      - .offset:         60
        .size:           2
        .value_kind:     hidden_remainder_y
      - .offset:         62
        .size:           2
        .value_kind:     hidden_remainder_z
      - .offset:         80
        .size:           8
        .value_kind:     hidden_global_offset_x
      - .offset:         88
        .size:           8
        .value_kind:     hidden_global_offset_y
      - .offset:         96
        .size:           8
        .value_kind:     hidden_global_offset_z
      - .offset:         104
        .size:           2
        .value_kind:     hidden_grid_dims
    .group_segment_fixed_size: 72
    .kernarg_segment_align: 8
    .kernarg_segment_size: 296
    .language:       OpenCL C
    .language_version:
      - 2
      - 0
    .max_flat_workgroup_size: 1024
    .name:           _Z36dynamic_scaled_int8_azp_quant_kernelI12hip_bfloat16fiEvPKT_PaPT0_PT1_i
    .private_segment_fixed_size: 0
    .sgpr_count:     40
    .sgpr_spill_count: 0
    .symbol:         _Z36dynamic_scaled_int8_azp_quant_kernelI12hip_bfloat16fiEvPKT_PaPT0_PT1_i.kd
    .uniform_work_group_size: 1
    .uses_dynamic_stack: false
    .vgpr_count:     20
    .vgpr_spill_count: 0
    .wavefront_size: 64
  - .args:
      - .actual_access:  read_only
        .address_space:  global
        .offset:         0
        .size:           8
        .value_kind:     global_buffer
      - .actual_access:  write_only
        .address_space:  global
        .offset:         8
        .size:           8
        .value_kind:     global_buffer
      - .offset:         16
        .size:           4
        .value_kind:     by_value
      - .offset:         20
        .size:           4
        .value_kind:     by_value
      - .offset:         24
        .size:           4
        .value_kind:     hidden_block_count_x
      - .offset:         28
        .size:           4
        .value_kind:     hidden_block_count_y
      - .offset:         32
        .size:           4
        .value_kind:     hidden_block_count_z
      - .offset:         36
        .size:           2
        .value_kind:     hidden_group_size_x
      - .offset:         38
        .size:           2
        .value_kind:     hidden_group_size_y
      - .offset:         40
        .size:           2
        .value_kind:     hidden_group_size_z
      - .offset:         42
        .size:           2
        .value_kind:     hidden_remainder_x
      - .offset:         44
        .size:           2
        .value_kind:     hidden_remainder_y
      - .offset:         46
        .size:           2
        .value_kind:     hidden_remainder_z
      - .offset:         64
        .size:           8
        .value_kind:     hidden_global_offset_x
      - .offset:         72
        .size:           8
        .value_kind:     hidden_global_offset_y
      - .offset:         80
        .size:           8
        .value_kind:     hidden_global_offset_z
      - .offset:         88
        .size:           2
        .value_kind:     hidden_grid_dims
    .group_segment_fixed_size: 0
    .kernarg_segment_align: 8
    .kernarg_segment_size: 280
    .language:       OpenCL C
    .language_version:
      - 2
      - 0
    .max_flat_workgroup_size: 1024
    .name:           _Z31static_scaled_int8_quant_kernelIffEvPKT_PaT0_i
    .private_segment_fixed_size: 0
    .sgpr_count:     16
    .sgpr_spill_count: 0
    .symbol:         _Z31static_scaled_int8_quant_kernelIffEvPKT_PaT0_i.kd
    .uniform_work_group_size: 1
    .uses_dynamic_stack: false
    .vgpr_count:     12
    .vgpr_spill_count: 0
    .wavefront_size: 64
  - .args:
      - .actual_access:  read_only
        .address_space:  global
        .offset:         0
        .size:           8
        .value_kind:     global_buffer
      - .actual_access:  write_only
        .address_space:  global
        .offset:         8
        .size:           8
        .value_kind:     global_buffer
      - .offset:         16
        .size:           4
        .value_kind:     by_value
      - .offset:         20
        .size:           4
        .value_kind:     by_value
      - .offset:         24
        .size:           4
        .value_kind:     by_value
      - .offset:         32
        .size:           4
        .value_kind:     hidden_block_count_x
      - .offset:         36
        .size:           4
        .value_kind:     hidden_block_count_y
      - .offset:         40
        .size:           4
        .value_kind:     hidden_block_count_z
      - .offset:         44
        .size:           2
        .value_kind:     hidden_group_size_x
      - .offset:         46
        .size:           2
        .value_kind:     hidden_group_size_y
      - .offset:         48
        .size:           2
        .value_kind:     hidden_group_size_z
      - .offset:         50
        .size:           2
        .value_kind:     hidden_remainder_x
      - .offset:         52
        .size:           2
        .value_kind:     hidden_remainder_y
      - .offset:         54
        .size:           2
        .value_kind:     hidden_remainder_z
      - .offset:         72
        .size:           8
        .value_kind:     hidden_global_offset_x
      - .offset:         80
        .size:           8
        .value_kind:     hidden_global_offset_y
      - .offset:         88
        .size:           8
        .value_kind:     hidden_global_offset_z
      - .offset:         96
        .size:           2
        .value_kind:     hidden_grid_dims
    .group_segment_fixed_size: 0
    .kernarg_segment_align: 8
    .kernarg_segment_size: 288
    .language:       OpenCL C
    .language_version:
      - 2
      - 0
    .max_flat_workgroup_size: 1024
    .name:           _Z35static_scaled_int8_azp_quant_kernelIffiEvPKT_PaT0_T1_i
    .private_segment_fixed_size: 0
    .sgpr_count:     20
    .sgpr_spill_count: 0
    .symbol:         _Z35static_scaled_int8_azp_quant_kernelIffiEvPKT_PaT0_T1_i.kd
    .uniform_work_group_size: 1
    .uses_dynamic_stack: false
    .vgpr_count:     11
    .vgpr_spill_count: 0
    .wavefront_size: 64
  - .args:
      - .actual_access:  read_only
        .address_space:  global
        .offset:         0
        .size:           8
        .value_kind:     global_buffer
      - .actual_access:  write_only
        .address_space:  global
        .offset:         8
        .size:           8
        .value_kind:     global_buffer
      - .address_space:  global
        .offset:         16
        .size:           8
        .value_kind:     global_buffer
      - .offset:         24
        .size:           4
        .value_kind:     by_value
      - .offset:         32
        .size:           4
        .value_kind:     hidden_block_count_x
      - .offset:         36
        .size:           4
        .value_kind:     hidden_block_count_y
      - .offset:         40
        .size:           4
        .value_kind:     hidden_block_count_z
      - .offset:         44
        .size:           2
        .value_kind:     hidden_group_size_x
      - .offset:         46
        .size:           2
        .value_kind:     hidden_group_size_y
      - .offset:         48
        .size:           2
        .value_kind:     hidden_group_size_z
      - .offset:         50
        .size:           2
        .value_kind:     hidden_remainder_x
      - .offset:         52
        .size:           2
        .value_kind:     hidden_remainder_y
      - .offset:         54
        .size:           2
        .value_kind:     hidden_remainder_z
      - .offset:         72
        .size:           8
        .value_kind:     hidden_global_offset_x
      - .offset:         80
        .size:           8
        .value_kind:     hidden_global_offset_y
      - .offset:         88
        .size:           8
        .value_kind:     hidden_global_offset_z
      - .offset:         96
        .size:           2
        .value_kind:     hidden_grid_dims
    .group_segment_fixed_size: 68
    .kernarg_segment_align: 8
    .kernarg_segment_size: 288
    .language:       OpenCL C
    .language_version:
      - 2
      - 0
    .max_flat_workgroup_size: 1024
    .name:           _Z32dynamic_scaled_int8_quant_kernelIffEvPKT_PaPT0_i
    .private_segment_fixed_size: 0
    .sgpr_count:     23
    .sgpr_spill_count: 0
    .symbol:         _Z32dynamic_scaled_int8_quant_kernelIffEvPKT_PaPT0_i.kd
    .uniform_work_group_size: 1
    .uses_dynamic_stack: false
    .vgpr_count:     11
    .vgpr_spill_count: 0
    .wavefront_size: 64
  - .args:
      - .actual_access:  read_only
        .address_space:  global
        .offset:         0
        .size:           8
        .value_kind:     global_buffer
      - .actual_access:  write_only
        .address_space:  global
        .offset:         8
        .size:           8
        .value_kind:     global_buffer
      - .address_space:  global
        .offset:         16
        .size:           8
        .value_kind:     global_buffer
      - .address_space:  global
        .offset:         24
        .size:           8
        .value_kind:     global_buffer
      - .offset:         32
        .size:           4
        .value_kind:     by_value
      - .offset:         40
        .size:           4
        .value_kind:     hidden_block_count_x
      - .offset:         44
        .size:           4
        .value_kind:     hidden_block_count_y
      - .offset:         48
        .size:           4
        .value_kind:     hidden_block_count_z
      - .offset:         52
        .size:           2
        .value_kind:     hidden_group_size_x
      - .offset:         54
        .size:           2
        .value_kind:     hidden_group_size_y
      - .offset:         56
        .size:           2
        .value_kind:     hidden_group_size_z
      - .offset:         58
        .size:           2
        .value_kind:     hidden_remainder_x
      - .offset:         60
        .size:           2
        .value_kind:     hidden_remainder_y
      - .offset:         62
        .size:           2
        .value_kind:     hidden_remainder_z
      - .offset:         80
        .size:           8
        .value_kind:     hidden_global_offset_x
      - .offset:         88
        .size:           8
        .value_kind:     hidden_global_offset_y
      - .offset:         96
        .size:           8
        .value_kind:     hidden_global_offset_z
      - .offset:         104
        .size:           2
        .value_kind:     hidden_grid_dims
    .group_segment_fixed_size: 72
    .kernarg_segment_align: 8
    .kernarg_segment_size: 296
    .language:       OpenCL C
    .language_version:
      - 2
      - 0
    .max_flat_workgroup_size: 1024
    .name:           _Z36dynamic_scaled_int8_azp_quant_kernelIffiEvPKT_PaPT0_PT1_i
    .private_segment_fixed_size: 0
    .sgpr_count:     40
    .sgpr_spill_count: 0
    .symbol:         _Z36dynamic_scaled_int8_azp_quant_kernelIffiEvPKT_PaPT0_PT1_i.kd
    .uniform_work_group_size: 1
    .uses_dynamic_stack: false
    .vgpr_count:     20
    .vgpr_spill_count: 0
    .wavefront_size: 64
amdhsa.target:   amdgcn-amd-amdhsa--gfx906
amdhsa.version:
  - 1
  - 2
...

	.end_amdgpu_metadata
